;; amdgpu-corpus repo=ROCm/aiter kind=harvested arch=n/a opt=n/a

/root/src/amdgpu-assembly/repos/ROCm__aiter/hsa/gfx942/fmoe_2stages/fmoe_stage1_bf16_pertokenFp8_blockscale_g1u1_80x256_pf3.co:	file format elf64-amdgpu

Disassembly of section .text:

0000000000002a00 <_ZN5aiter55fmoe_stage1_bf16_pertokenFp8_blockscale_g1u1_80x256_pf3E>:
	s_and_b32 s1, s1, 0xffff                                   // 000000002A00: 8601FF01 0000FFFF
	s_load_dwordx2 s[8:9], s[0:1], 0x0                         // 000000002A08: C0060200 00000000
	s_load_dwordx2 s[20:21], s[0:1], 0x10                      // 000000002A10: C0060500 00000010
	s_load_dwordx2 s[24:25], s[0:1], 0x20                      // 000000002A18: C0060600 00000020
	s_load_dwordx2 s[48:49], s[0:1], 0x30                      // 000000002A20: C0060C00 00000030
	s_load_dwordx2 s[28:29], s[0:1], 0x40                      // 000000002A28: C0060700 00000040
	s_load_dwordx2 s[32:33], s[0:1], 0x50                      // 000000002A30: C0060800 00000050
	s_load_dwordx2 s[36:37], s[0:1], 0x60                      // 000000002A38: C0060900 00000060
	s_load_dwordx2 s[12:13], s[0:1], 0x70                      // 000000002A40: C0060300 00000070
	s_load_dwordx2 s[44:45], s[0:1], 0x80                      // 000000002A48: C0060B00 00000080
	s_mov_b32 s89, 0                                           // 000000002A50: BED90080
	s_load_dword s64, s[0:1], 0x90                             // 000000002A54: C0021000 00000090
	s_load_dword s65, s[0:1], 0xa0                             // 000000002A5C: C0021040 000000A0
	s_load_dword s66, s[0:1], 0xb0                             // 000000002A64: C0021080 000000B0
	s_load_dword s67, s[0:1], 0xc0                             // 000000002A6C: C00210C0 000000C0
	s_load_dword s68, s[0:1], 0xd0                             // 000000002A74: C0021100 000000D0
	s_load_dword s69, s[0:1], 0xe0                             // 000000002A7C: C0021140 000000E0
	s_load_dword s71, s[0:1], 0xf0                             // 000000002A84: C00211C0 000000F0
	s_load_dword s72, s[0:1], 0x100                            // 000000002A8C: C0021200 00000100
	s_load_dword s74, s[0:1], 0x110                            // 000000002A94: C0021280 00000110
	s_load_dword s76, s[0:1], 0x120                            // 000000002A9C: C0021300 00000120
	s_load_dword s56, s[0:1], 0x130                            // 000000002AA4: C0020E00 00000130
	s_load_dword s88, s[0:1], 0x140                            // 000000002AAC: C0021600 00000140
	s_load_dword s89, s[0:1], 0x150                            // 000000002AB4: C0021640 00000150
	v_lshrrev_b32_e32 v1, 10, v0                               // 000000002ABC: 2002008A
	v_lshrrev_b32_e32 v2, 10, v1                               // 000000002AC0: 2004028A
	v_and_b32_e32 v2, 0x3ff, v2                                // 000000002AC4: 260404FF 000003FF
	v_and_b32_e32 v1, 0x3ff, v1                                // 000000002ACC: 260202FF 000003FF
	v_and_b32_e32 v0, 0x3ff, v0                                // 000000002AD4: 260000FF 000003FF
	v_lshrrev_b32_e32 v3, 6, v0                                // 000000002ADC: 20060086
	v_and_b32_e32 v0, 63, v0                                   // 000000002AE0: 260000BF
	s_mov_b32 s2, s2                                           // 000000002AE4: BE820002
	s_mov_b32 s3, s3                                           // 000000002AE8: BE830003
	s_mov_b32 s4, s4                                           // 000000002AEC: BE840004
	v_readfirstlane_b32 s7, v3                                 // 000000002AF0: 7E0E0503
	s_waitcnt lgkmcnt(0)                                       // 000000002AF4: BF8CC07F
	s_and_b32 s49, s49, 0xffff                                 // 000000002AF8: 8631FF31 0000FFFF
	s_load_dword s48, s[48:49], 0x0                            // 000000002B00: C0020C18 00000000
	s_and_b32 s45, s45, 0xffff                                 // 000000002B08: 862DFF2D 0000FFFF
	s_and_b32 s9, s9, 0xffff                                   // 000000002B10: 8609FF09 0000FFFF
	s_mul_i32 s60, s66, s68                                    // 000000002B18: 923C4442
	s_mul_i32 s61, s66, 4                                      // 000000002B1C: 923D8442
	s_mov_b32 s22, s60                                         // 000000002B20: BE96003C
	s_mov_b32 s26, -16                                         // 000000002B24: BE9A00D0
	s_mov_b32 s30, s61                                         // 000000002B28: BE9E003D
	s_mov_b32 s14, 0x140                                       // 000000002B2C: BE8E00FF 00000140
	s_mov_b32 s38, -16                                         // 000000002B34: BEA600D0
	s_mov_b32 s10, -16                                         // 000000002B38: BE8A00D0
	s_lshr_b32 s60, s64, 7                                     // 000000002B3C: 8F3C8740
	s_mul_i32 s61, s60, 4                                      // 000000002B40: 923D843C
	s_lshr_b32 s60, s65, 7                                     // 000000002B44: 8F3C8741
	s_add_u32 s60, s60, 2                                      // 000000002B48: 803C823C
	s_mul_i32 s60, s60, s61                                    // 000000002B4C: 923C3D3C
	s_mov_b32 s34, s60                                         // 000000002B50: BEA2003C
	s_mov_b32 s23, 0x20000                                     // 000000002B54: BE9700FF 00020000
	s_mov_b32 s27, 0x20000                                     // 000000002B5C: BE9B00FF 00020000
	s_mov_b32 s31, 0x20000                                     // 000000002B64: BE9F00FF 00020000
	s_mov_b32 s35, 0x20000                                     // 000000002B6C: BEA300FF 00020000
	s_mov_b32 s15, 0x20000                                     // 000000002B74: BE8F00FF 00020000
	s_mov_b32 s39, 0x20000                                     // 000000002B7C: BEA700FF 00020000
	s_mov_b32 s11, 0x20000                                     // 000000002B84: BE8B00FF 00020000
	s_and_b32 s21, s21, 0xffff                                 // 000000002B8C: 8615FF15 0000FFFF
	s_and_b32 s25, s25, 0xffff                                 // 000000002B94: 8619FF19 0000FFFF
	s_and_b32 s29, s29, 0xffff                                 // 000000002B9C: 861DFF1D 0000FFFF
	s_and_b32 s33, s33, 0xffff                                 // 000000002BA4: 8621FF21 0000FFFF
	s_and_b32 s13, s13, 0xffff                                 // 000000002BAC: 860DFF0D 0000FFFF
	s_and_b32 s37, s37, 0xffff                                 // 000000002BB4: 8625FF25 0000FFFF
	s_or_b32 s21, s21, 0x40000                                 // 000000002BBC: 8715FF15 00040000
	s_or_b32 s25, s25, 0x40000                                 // 000000002BC4: 8719FF19 00040000
	s_or_b32 s29, s29, 0x40000                                 // 000000002BCC: 871DFF1D 00040000
	s_or_b32 s33, s33, 0x40000                                 // 000000002BD4: 8721FF21 00040000
	s_or_b32 s13, s13, 0x40000                                 // 000000002BDC: 870DFF0D 00040000
	s_or_b32 s37, s37, 0x40000                                 // 000000002BE4: 8725FF25 00040000
	v_accvgpr_write_b32 a175, 0                                // 000000002BEC: D3D940AF 18000080
	v_mov_b32_e32 v223, 0                                      // 000000002BF4: 7FBE0280
	s_waitcnt lgkmcnt(0)                                       // 000000002BF8: BF8CC07F
	s_mul_i32 s60, s3, 0x50                                    // 000000002BFC: 923CFF03 00000050
	s_cmp_lt_i32 s60, s48                                      // 000000002C04: BF04303C
	s_cbranch_scc0 label_4DE4                                  // 000000002C08: BF844D5E
	s_mov_b32 s80, 0                                           // 000000002C0C: BED00080
	s_lshr_b32 s81, s64, s88                                   // 000000002C10: 8F515840
	s_mul_i32 s60, s3, 4                                       // 000000002C14: 923C8403
	s_add_u32 s44, s60, s44                                    // 000000002C18: 802C2C3C
	s_addc_u32 s45, 0, s45                                     // 000000002C1C: 822D2D80
	s_load_dword s5, s[44:45], 0x0                             // 000000002C20: C0020156 00000000
	s_mul_i32 s60, s3, 0x50                                    // 000000002C28: 923CFF03 00000050
	s_mul_i32 s60, 4, s60                                      // 000000002C30: 923C3C84
	s_add_u32 s12, s60, s12                                    // 000000002C34: 800C0C3C
	s_addc_u32 s13, 0, s13                                     // 000000002C38: 820D0D80
	v_and_b32_e32 v4, 15, v0                                   // 000000002C3C: 2608008F
	v_lshlrev_b32_e32 v4, 2, v4                                // 000000002C40: 24080882
	buffer_load_dword v30, v4, s[12:15], 0 offen               // 000000002C44: E0501000 80031E04
	v_add_u32_e32 v4, 64, v4                                   // 000000002C4C: 680808C0
	buffer_load_dword v31, v4, s[12:15], 0 offen               // 000000002C50: E0501000 80031F04
	v_add_u32_e32 v4, 64, v4                                   // 000000002C58: 680808C0
	buffer_load_dword v32, v4, s[12:15], 0 offen               // 000000002C5C: E0501000 80032004
	v_add_u32_e32 v4, 64, v4                                   // 000000002C64: 680808C0
	buffer_load_dword v33, v4, s[12:15], 0 offen               // 000000002C68: E0501000 80032104
	v_add_u32_e32 v4, 64, v4                                   // 000000002C70: 680808C0
	buffer_load_dword v34, v4, s[12:15], 0 offen               // 000000002C74: E0501000 80032204
	v_add_u32_e32 v4, 64, v4                                   // 000000002C7C: 680808C0
	s_mul_i32 s60, 4, s7                                       // 000000002C80: 923C0784
	v_lshlrev_b32_e32 v4, 4, v0                                // 000000002C84: 24080084
	v_add_u32_e32 v4, s60, v4                                  // 000000002C88: 6808083C
	buffer_load_dword v3, v4, s[12:15], 0 offen                // 000000002C8C: E0501000 80030304
	v_mov_b32_e32 v64, 0                                       // 000000002C94: 7E800280
	v_mov_b32_e32 v144, 0                                      // 000000002C98: 7F200280
	v_mov_b32_e32 v65, 0                                       // 000000002C9C: 7E820280
	v_mov_b32_e32 v145, 0                                      // 000000002CA0: 7F220280
	v_mov_b32_e32 v66, 0                                       // 000000002CA4: 7E840280
	v_mov_b32_e32 v146, 0                                      // 000000002CA8: 7F240280
	v_mov_b32_e32 v67, 0                                       // 000000002CAC: 7E860280
	v_mov_b32_e32 v147, 0                                      // 000000002CB0: 7F260280
	v_mov_b32_e32 v68, 0                                       // 000000002CB4: 7E880280
	v_mov_b32_e32 v148, 0                                      // 000000002CB8: 7F280280
	v_mov_b32_e32 v69, 0                                       // 000000002CBC: 7E8A0280
	v_mov_b32_e32 v149, 0                                      // 000000002CC0: 7F2A0280
	v_mov_b32_e32 v70, 0                                       // 000000002CC4: 7E8C0280
	v_mov_b32_e32 v150, 0                                      // 000000002CC8: 7F2C0280
	v_mov_b32_e32 v71, 0                                       // 000000002CCC: 7E8E0280
	v_mov_b32_e32 v151, 0                                      // 000000002CD0: 7F2E0280
	v_mov_b32_e32 v72, 0                                       // 000000002CD4: 7E900280
	v_mov_b32_e32 v152, 0                                      // 000000002CD8: 7F300280
	v_mov_b32_e32 v73, 0                                       // 000000002CDC: 7E920280
	v_mov_b32_e32 v153, 0                                      // 000000002CE0: 7F320280
	v_mov_b32_e32 v74, 0                                       // 000000002CE4: 7E940280
	v_mov_b32_e32 v154, 0                                      // 000000002CE8: 7F340280
	v_mov_b32_e32 v75, 0                                       // 000000002CEC: 7E960280
	v_mov_b32_e32 v155, 0                                      // 000000002CF0: 7F360280
	v_mov_b32_e32 v76, 0                                       // 000000002CF4: 7E980280
	v_mov_b32_e32 v156, 0                                      // 000000002CF8: 7F380280
	v_mov_b32_e32 v77, 0                                       // 000000002CFC: 7E9A0280
	v_mov_b32_e32 v157, 0                                      // 000000002D00: 7F3A0280
	v_mov_b32_e32 v78, 0                                       // 000000002D04: 7E9C0280
	v_mov_b32_e32 v158, 0                                      // 000000002D08: 7F3C0280
	v_mov_b32_e32 v79, 0                                       // 000000002D0C: 7E9E0280
	v_mov_b32_e32 v159, 0                                      // 000000002D10: 7F3E0280
	v_mov_b32_e32 v80, 0                                       // 000000002D14: 7EA00280
	v_mov_b32_e32 v160, 0                                      // 000000002D18: 7F400280
	v_mov_b32_e32 v81, 0                                       // 000000002D1C: 7EA20280
	v_mov_b32_e32 v161, 0                                      // 000000002D20: 7F420280
	v_mov_b32_e32 v82, 0                                       // 000000002D24: 7EA40280
	v_mov_b32_e32 v162, 0                                      // 000000002D28: 7F440280
	v_mov_b32_e32 v83, 0                                       // 000000002D2C: 7EA60280
	v_mov_b32_e32 v163, 0                                      // 000000002D30: 7F460280
	v_mov_b32_e32 v84, 0                                       // 000000002D34: 7EA80280
	v_mov_b32_e32 v164, 0                                      // 000000002D38: 7F480280
	v_mov_b32_e32 v85, 0                                       // 000000002D3C: 7EAA0280
	v_mov_b32_e32 v165, 0                                      // 000000002D40: 7F4A0280
	v_mov_b32_e32 v86, 0                                       // 000000002D44: 7EAC0280
	v_mov_b32_e32 v166, 0                                      // 000000002D48: 7F4C0280
	v_mov_b32_e32 v87, 0                                       // 000000002D4C: 7EAE0280
	v_mov_b32_e32 v167, 0                                      // 000000002D50: 7F4E0280
	v_mov_b32_e32 v88, 0                                       // 000000002D54: 7EB00280
	v_mov_b32_e32 v168, 0                                      // 000000002D58: 7F500280
	v_mov_b32_e32 v89, 0                                       // 000000002D5C: 7EB20280
	v_mov_b32_e32 v169, 0                                      // 000000002D60: 7F520280
	v_mov_b32_e32 v90, 0                                       // 000000002D64: 7EB40280
	v_mov_b32_e32 v170, 0                                      // 000000002D68: 7F540280
	v_mov_b32_e32 v91, 0                                       // 000000002D6C: 7EB60280
	v_mov_b32_e32 v171, 0                                      // 000000002D70: 7F560280
	v_mov_b32_e32 v92, 0                                       // 000000002D74: 7EB80280
	v_mov_b32_e32 v172, 0                                      // 000000002D78: 7F580280
	v_mov_b32_e32 v93, 0                                       // 000000002D7C: 7EBA0280
	v_mov_b32_e32 v173, 0                                      // 000000002D80: 7F5A0280
	v_mov_b32_e32 v94, 0                                       // 000000002D84: 7EBC0280
	v_mov_b32_e32 v174, 0                                      // 000000002D88: 7F5C0280
	v_mov_b32_e32 v95, 0                                       // 000000002D8C: 7EBE0280
	v_mov_b32_e32 v175, 0                                      // 000000002D90: 7F5E0280
	v_mov_b32_e32 v96, 0                                       // 000000002D94: 7EC00280
	v_mov_b32_e32 v176, 0                                      // 000000002D98: 7F600280
	v_mov_b32_e32 v97, 0                                       // 000000002D9C: 7EC20280
	v_mov_b32_e32 v177, 0                                      // 000000002DA0: 7F620280
	v_mov_b32_e32 v98, 0                                       // 000000002DA4: 7EC40280
	v_mov_b32_e32 v178, 0                                      // 000000002DA8: 7F640280
	v_mov_b32_e32 v99, 0                                       // 000000002DAC: 7EC60280
	v_mov_b32_e32 v179, 0                                      // 000000002DB0: 7F660280
	v_mov_b32_e32 v100, 0                                      // 000000002DB4: 7EC80280
	v_mov_b32_e32 v180, 0                                      // 000000002DB8: 7F680280
	v_mov_b32_e32 v101, 0                                      // 000000002DBC: 7ECA0280
	v_mov_b32_e32 v181, 0                                      // 000000002DC0: 7F6A0280
	v_mov_b32_e32 v102, 0                                      // 000000002DC4: 7ECC0280
	v_mov_b32_e32 v182, 0                                      // 000000002DC8: 7F6C0280
	v_mov_b32_e32 v103, 0                                      // 000000002DCC: 7ECE0280
	v_mov_b32_e32 v183, 0                                      // 000000002DD0: 7F6E0280
	v_mov_b32_e32 v104, 0                                      // 000000002DD4: 7ED00280
	v_mov_b32_e32 v184, 0                                      // 000000002DD8: 7F700280
	v_mov_b32_e32 v105, 0                                      // 000000002DDC: 7ED20280
	v_mov_b32_e32 v185, 0                                      // 000000002DE0: 7F720280
	v_mov_b32_e32 v106, 0                                      // 000000002DE4: 7ED40280
	v_mov_b32_e32 v186, 0                                      // 000000002DE8: 7F740280
	v_mov_b32_e32 v107, 0                                      // 000000002DEC: 7ED60280
	v_mov_b32_e32 v187, 0                                      // 000000002DF0: 7F760280
	v_mov_b32_e32 v108, 0                                      // 000000002DF4: 7ED80280
	v_mov_b32_e32 v188, 0                                      // 000000002DF8: 7F780280
	v_mov_b32_e32 v109, 0                                      // 000000002DFC: 7EDA0280
	v_mov_b32_e32 v189, 0                                      // 000000002E00: 7F7A0280
	v_mov_b32_e32 v110, 0                                      // 000000002E04: 7EDC0280
	v_mov_b32_e32 v190, 0                                      // 000000002E08: 7F7C0280
	v_mov_b32_e32 v111, 0                                      // 000000002E0C: 7EDE0280
	v_mov_b32_e32 v191, 0                                      // 000000002E10: 7F7E0280
	v_mov_b32_e32 v112, 0                                      // 000000002E14: 7EE00280
	v_mov_b32_e32 v192, 0                                      // 000000002E18: 7F800280
	v_mov_b32_e32 v113, 0                                      // 000000002E1C: 7EE20280
	v_mov_b32_e32 v193, 0                                      // 000000002E20: 7F820280
	v_mov_b32_e32 v114, 0                                      // 000000002E24: 7EE40280
	v_mov_b32_e32 v194, 0                                      // 000000002E28: 7F840280
	v_mov_b32_e32 v115, 0                                      // 000000002E2C: 7EE60280
	v_mov_b32_e32 v195, 0                                      // 000000002E30: 7F860280
	v_mov_b32_e32 v116, 0                                      // 000000002E34: 7EE80280
	v_mov_b32_e32 v196, 0                                      // 000000002E38: 7F880280
	v_mov_b32_e32 v117, 0                                      // 000000002E3C: 7EEA0280
	v_mov_b32_e32 v197, 0                                      // 000000002E40: 7F8A0280
	v_mov_b32_e32 v118, 0                                      // 000000002E44: 7EEC0280
	v_mov_b32_e32 v198, 0                                      // 000000002E48: 7F8C0280
	v_mov_b32_e32 v119, 0                                      // 000000002E4C: 7EEE0280
	v_mov_b32_e32 v199, 0                                      // 000000002E50: 7F8E0280
	v_mov_b32_e32 v120, 0                                      // 000000002E54: 7EF00280
	v_mov_b32_e32 v200, 0                                      // 000000002E58: 7F900280
	v_mov_b32_e32 v121, 0                                      // 000000002E5C: 7EF20280
	v_mov_b32_e32 v201, 0                                      // 000000002E60: 7F920280
	v_mov_b32_e32 v122, 0                                      // 000000002E64: 7EF40280
	v_mov_b32_e32 v202, 0                                      // 000000002E68: 7F940280
	v_mov_b32_e32 v123, 0                                      // 000000002E6C: 7EF60280
	v_mov_b32_e32 v203, 0                                      // 000000002E70: 7F960280
	v_mov_b32_e32 v124, 0                                      // 000000002E74: 7EF80280
	v_mov_b32_e32 v204, 0                                      // 000000002E78: 7F980280
	v_mov_b32_e32 v125, 0                                      // 000000002E7C: 7EFA0280
	v_mov_b32_e32 v205, 0                                      // 000000002E80: 7F9A0280
	v_mov_b32_e32 v126, 0                                      // 000000002E84: 7EFC0280
	v_mov_b32_e32 v206, 0                                      // 000000002E88: 7F9C0280
	v_mov_b32_e32 v127, 0                                      // 000000002E8C: 7EFE0280
	v_mov_b32_e32 v207, 0                                      // 000000002E90: 7F9E0280
	v_mov_b32_e32 v128, 0                                      // 000000002E94: 7F000280
	v_mov_b32_e32 v208, 0                                      // 000000002E98: 7FA00280
	v_mov_b32_e32 v129, 0                                      // 000000002E9C: 7F020280
	v_mov_b32_e32 v209, 0                                      // 000000002EA0: 7FA20280
	v_mov_b32_e32 v130, 0                                      // 000000002EA4: 7F040280
	v_mov_b32_e32 v210, 0                                      // 000000002EA8: 7FA40280
	v_mov_b32_e32 v131, 0                                      // 000000002EAC: 7F060280
	v_mov_b32_e32 v211, 0                                      // 000000002EB0: 7FA60280
	v_mov_b32_e32 v132, 0                                      // 000000002EB4: 7F080280
	v_mov_b32_e32 v212, 0                                      // 000000002EB8: 7FA80280
	v_mov_b32_e32 v133, 0                                      // 000000002EBC: 7F0A0280
	v_mov_b32_e32 v213, 0                                      // 000000002EC0: 7FAA0280
	v_mov_b32_e32 v134, 0                                      // 000000002EC4: 7F0C0280
	v_mov_b32_e32 v214, 0                                      // 000000002EC8: 7FAC0280
	v_mov_b32_e32 v135, 0                                      // 000000002ECC: 7F0E0280
	v_mov_b32_e32 v215, 0                                      // 000000002ED0: 7FAE0280
	v_mov_b32_e32 v136, 0                                      // 000000002ED4: 7F100280
	v_mov_b32_e32 v216, 0                                      // 000000002ED8: 7FB00280
	v_mov_b32_e32 v137, 0                                      // 000000002EDC: 7F120280
	v_mov_b32_e32 v217, 0                                      // 000000002EE0: 7FB20280
	v_mov_b32_e32 v138, 0                                      // 000000002EE4: 7F140280
	v_mov_b32_e32 v218, 0                                      // 000000002EE8: 7FB40280
	v_mov_b32_e32 v139, 0                                      // 000000002EEC: 7F160280
	v_mov_b32_e32 v219, 0                                      // 000000002EF0: 7FB60280
	v_mov_b32_e32 v140, 0                                      // 000000002EF4: 7F180280
	v_mov_b32_e32 v220, 0                                      // 000000002EF8: 7FB80280
	v_mov_b32_e32 v141, 0                                      // 000000002EFC: 7F1A0280
	v_mov_b32_e32 v221, 0                                      // 000000002F00: 7FBA0280
	v_mov_b32_e32 v142, 0                                      // 000000002F04: 7F1C0280
	v_mov_b32_e32 v222, 0                                      // 000000002F08: 7FBC0280
	v_mov_b32_e32 v143, 0                                      // 000000002F0C: 7F1E0280
	v_mov_b32_e32 v223, 0                                      // 000000002F10: 7FBE0280
	s_mul_i32 s60, s2, 0x100                                   // 000000002F14: 923CFF02 00000100
	s_cmp_eq_u32 s88, 0                                        // 000000002F1C: BF068058
	s_cselect_b32 s61, 1, 4                                    // 000000002F20: 853D8481
	s_mul_i32 s60, s60, s61                                    // 000000002F24: 923C3D3C
	s_mov_b32 s90, s8                                          // 000000002F28: BEDA0008
	s_mov_b32 s91, s9                                          // 000000002F2C: BEDB0009
	s_add_u32 s8, s60, s8                                      // 000000002F30: 8008083C
	s_addc_u32 s9, 0, s9                                       // 000000002F34: 82090980
	v_lshrrev_b32_e32 v4, 4, v0                                // 000000002F38: 20080084
	v_mul_lo_u32 v20, 34, v4                                   // 000000002F3C: D2850014 000208A2
	v_and_b32_e32 v4, 15, v0                                   // 000000002F44: 2608008F
	v_mul_lo_u32 v5, 2, v4                                     // 000000002F48: D2850005 00020882
	v_add_u32_e32 v20, v5, v20                                 // 000000002F50: 68282905
	s_mul_i32 s60, s7, 0x88                                    // 000000002F54: 923CFF07 00000088
	v_add_u32_e32 v20, s60, v20                                // 000000002F5C: 6828283C
	v_lshlrev_b32_e32 v20, 2, v20                              // 000000002F60: 24282882
	v_and_b32_e32 v4, 31, v0                                   // 000000002F64: 2608009F
	v_lshrrev_b32_e32 v4, 1, v4                                // 000000002F68: 20080881
	v_mul_lo_u32 v21, 34, v4                                   // 000000002F6C: D2850015 000208A2
	v_lshrrev_b32_e32 v4, 5, v0                                // 000000002F74: 20080085
	v_mul_lo_u32 v4, 8, v4                                     // 000000002F78: D2850004 00020888
	v_add_u32_e32 v21, v21, v4                                 // 000000002F80: 682A0915
	v_and_b32_e32 v5, 1, v0                                    // 000000002F84: 260A0081
	v_add_u32_e32 v21, v5, v21                                 // 000000002F88: 682A2B05
	s_mul_i32 s60, s7, 2                                       // 000000002F8C: 923C8207
	v_add_u32_e32 v21, s60, v21                                // 000000002F90: 682A2A3C
	v_lshlrev_b32_e32 v21, 2, v21                              // 000000002F94: 242A2A82
	s_mul_i32 s60, s7, 0xa20                                   // 000000002F98: 923CFF07 00000A20
	s_add_u32 s48, 0, s60                                      // 000000002FA0: 80303C80
	s_add_u32 s49, 0x2880, s48                                 // 000000002FA4: 803130FF 00002880
	s_add_u32 s50, 0x2880, s49                                 // 000000002FAC: 803231FF 00002880
	v_lshrrev_b32_e32 v4, 4, v0                                // 000000002FB4: 20080084
	v_lshlrev_b32_e32 v5, 2, v4                                // 000000002FB8: 240A0882
	v_and_b32_e32 v4, 15, v0                                   // 000000002FBC: 2608008F
	v_lshrrev_b32_e32 v6, 2, v4                                // 000000002FC0: 200C0882
	v_lshlrev_b32_e32 v6, 5, v6                                // 000000002FC4: 240C0C85
	v_add_u32_e32 v5, v6, v5                                   // 000000002FC8: 680A0B06
	v_and_b32_e32 v4, 3, v0                                    // 000000002FCC: 26080083
	v_mul_u32_u24_e32 v6, 0x288, v4                            // 000000002FD0: 100C08FF 00000288
	v_add_u32_e32 v5, v6, v5                                   // 000000002FD8: 680A0B06
	v_lshlrev_b32_e32 v2, 2, v5                                // 000000002FDC: 24040A82
	s_waitcnt lgkmcnt(0)                                       // 000000002FE0: BF8CC07F
	s_mul_i32 s60, s2, 0x100                                   // 000000002FE4: 923CFF02 00000100
	s_mul_i32 s60, s60, s69                                    // 000000002FEC: 923C453C
	s_mul_i32 s61, s5, s72                                     // 000000002FF0: 923D4805
	s_add_u32 s60, s61, s60                                    // 000000002FF4: 803C3C3D
	s_add_u32 s24, s60, s24                                    // 000000002FF8: 8018183C
	s_addc_u32 s25, 0, s25                                     // 000000002FFC: 82191980
	s_lshr_b32 s60, s64, s88                                   // 000000003000: 8F3C5840
	s_mul_i32 s60, s4, s60                                     // 000000003004: 923C3C04
	s_lshr_b32 s60, s60, 7                                     // 000000003008: 8F3C873C
	s_mul_i32 s60, s60, 0x800                                  // 00000000300C: 923CFF3C 00000800
	s_add_u32 s24, s60, s24                                    // 000000003014: 8018183C
	s_addc_u32 s25, 0, s25                                     // 000000003018: 82191980
	s_lshr_b32 s60, s69, s88                                   // 00000000301C: 8F3C5845
	s_mul_i32 s60, s4, s60                                     // 000000003020: 923C3C04
	s_add_u32 s20, s60, s20                                    // 000000003024: 8014143C
	s_addc_u32 s21, 0, s21                                     // 000000003028: 82151580
	s_mul_i32 s60, s7, 16                                      // 00000000302C: 923C9007
	s_mul_i32 s60, s60, s69                                    // 000000003030: 923C453C
	v_lshlrev_b32_e32 v60, 4, v0                               // 000000003034: 24780084
	v_add_u32_e32 v60, s60, v60                                // 000000003038: 6878783C
	s_mul_i32 s60, 64, s69                                     // 00000000303C: 923C45C0
	v_add_u32_e32 v61, s60, v60                                // 000000003040: 687A783C
	v_add_u32_e32 v62, s60, v61                                // 000000003044: 687C7A3C
	v_add_u32_e32 v63, s60, v62                                // 000000003048: 687E7C3C
	s_mov_b32 s84, s24                                         // 00000000304C: BED40018
	s_mov_b32 s85, s25                                         // 000000003050: BED50019
	s_mov_b32 s86, s26                                         // 000000003054: BED6001A
	s_mov_b32 s87, s27                                         // 000000003058: BED7001B
	s_mul_i32 s60, s69, s65                                    // 00000000305C: 923C4145
	s_add_u32 s84, s60, s84                                    // 000000003060: 8054543C
	s_addc_u32 s85, 0, s85                                     // 000000003064: 82555580
	s_lshr_b32 s60, s64, 7                                     // 000000003068: 8F3C8740
	s_mul_i32 s61, s60, 4                                      // 00000000306C: 923D843C
	v_and_b32_e32 v22, 15, v0                                  // 000000003070: 262C008F
	v_mul_lo_u32 v22, v22, s61                                 // 000000003074: D2850016 00007B16
	s_lshr_b32 s60, s65, 7                                     // 00000000307C: 8F3C8741
	s_mul_i32 s60, s60, s61                                    // 000000003080: 923C3D3C
	v_add_u32_e64 v23, v22, s60                                // 000000003084: D1340017 00007916
	s_mul_i32 s60, s2, 2                                       // 00000000308C: 923C8202
	s_mul_i32 s60, s60, s61                                    // 000000003090: 923C3D3C
	s_mul_i32 s61, s5, s74                                     // 000000003094: 923D4A05
	s_add_u32 s61, s61, s60                                    // 000000003098: 803D3C3D
	s_add_u32 s32, s61, s32                                    // 00000000309C: 8020203D
	s_addc_u32 s33, 0, s33                                     // 0000000030A0: 82212180
	s_lshr_b32 s60, s64, 7                                     // 0000000030A4: 8F3C8740
	s_lshr_b32 s60, s60, s88                                   // 0000000030A8: 8F3C583C
	s_mul_i32 s60, s4, s60                                     // 0000000030AC: 923C3C04
	s_mul_i32 s61, s60, 4                                      // 0000000030B0: 923D843C
	s_add_u32 s32, s61, s32                                    // 0000000030B4: 8020203D
	s_addc_u32 s33, 0, s33                                     // 0000000030B8: 82212180
	s_lshl_b32 s62, s66, 2                                     // 0000000030BC: 8E3E8242
	s_mul_i32 s62, s60, s62                                    // 0000000030C0: 923E3E3C
	s_add_u32 s28, s62, s28                                    // 0000000030C4: 801C1C3E
	s_addc_u32 s29, 0, s29                                     // 0000000030C8: 821D1D80
	s_mov_b32 s4, 4                                            // 0000000030CC: BE840084
	s_mov_b32 s57, 0x80                                        // 0000000030D0: BEB900FF 00000080
	s_mov_b32 s58, 0x800                                       // 0000000030D8: BEBA00FF 00000800
	s_mov_b32 s83, s58                                         // 0000000030E0: BED3003A
	s_mov_b32 s52, 0x7060302                                   // 0000000030E4: BEB400FF 07060302
	s_mov_b32 s53, 0x400                                       // 0000000030EC: BEB500FF 00000400
	s_mov_b32 s54, 0x40100                                     // 0000000030F4: BEB600FF 00040100
	s_mov_b32 s55, 0x4020100                                   // 0000000030FC: BEB700FF 04020100
	s_mov_b32 s6, 0x3fb8aa3b                                   // 000000003104: BE8600FF 3FB8AA3B
	s_mov_b32 s78, 0xbd92220c                                  // 00000000310C: BECE00FF BD92220C
	s_mov_b32 s79, 0xbd92220c                                  // 000000003114: BECF00FF BD92220C
	s_mov_b32 m0, s48                                          // 00000000311C: BEFC0030
	v_mov_b32_e32 v1, 0xbfcc4231                               // 000000003120: 7E0202FF BFCC4231
	v_mov_b32_e32 v17, 0xffff0000                              // 000000003128: 7E2202FF FFFF0000
	v_mov_b32_e32 v18, 0x7fff0000                              // 000000003130: 7E2402FF 7FFF0000
	v_mov_b32_e32 v19, 0x7fff                                  // 000000003138: 7E2602FF 00007FFF
	s_waitcnt vmcnt(0) expcnt(0) lgkmcnt(0)                    // 000000003140: BF8C0000
	v_lshrrev_b32_e32 v4, 5, v0                                // 000000003144: 20080085
	v_xor_b32_e32 v5, 1, v4                                    // 000000003148: 2A0A0881
	v_readlane_b32 s82, v3, 0                                  // 00000000314C: D2890052 00010103
	s_and_b32 s82, s82, 0xffffff                               // 000000003154: 8652FF52 00FFFFFF
	v_mul_lo_u32 v6, v5, s82                                   // 00000000315C: D2850006 0000A505
	v_readlane_b32 s82, v3, 1                                  // 000000003164: D2890052 00010303
	s_and_b32 s82, s82, 0xffffff                               // 00000000316C: 8652FF52 00FFFFFF
	v_mul_lo_u32 v7, v4, s82                                   // 000000003174: D2850007 0000A504
	v_add_u32_e32 v50, v6, v7                                  // 00000000317C: 68640F06
	v_mul_lo_u32 v50, v50, s68                                 // 000000003180: D2850032 00008932
	v_readlane_b32 s82, v3, 2                                  // 000000003188: D2890052 00010503
	s_and_b32 s82, s82, 0xffffff                               // 000000003190: 8652FF52 00FFFFFF
	v_mul_lo_u32 v6, v5, s82                                   // 000000003198: D2850006 0000A505
	v_readlane_b32 s82, v3, 3                                  // 0000000031A0: D2890052 00010703
	s_and_b32 s82, s82, 0xffffff                               // 0000000031A8: 8652FF52 00FFFFFF
	v_mul_lo_u32 v7, v4, s82                                   // 0000000031B0: D2850007 0000A504
	v_add_u32_e32 v51, v6, v7                                  // 0000000031B8: 68660F06
	v_mul_lo_u32 v51, v51, s68                                 // 0000000031BC: D2850033 00008933
	v_readlane_b32 s82, v3, 4                                  // 0000000031C4: D2890052 00010903
	s_and_b32 s82, s82, 0xffffff                               // 0000000031CC: 8652FF52 00FFFFFF
	v_mul_lo_u32 v6, v5, s82                                   // 0000000031D4: D2850006 0000A505
	v_readlane_b32 s82, v3, 5                                  // 0000000031DC: D2890052 00010B03
	s_and_b32 s82, s82, 0xffffff                               // 0000000031E4: 8652FF52 00FFFFFF
	v_mul_lo_u32 v7, v4, s82                                   // 0000000031EC: D2850007 0000A504
	v_add_u32_e32 v52, v6, v7                                  // 0000000031F4: 68680F06
	v_mul_lo_u32 v52, v52, s68                                 // 0000000031F8: D2850034 00008934
	v_readlane_b32 s82, v3, 6                                  // 000000003200: D2890052 00010D03
	s_and_b32 s82, s82, 0xffffff                               // 000000003208: 8652FF52 00FFFFFF
	v_mul_lo_u32 v6, v5, s82                                   // 000000003210: D2850006 0000A505
	v_readlane_b32 s82, v3, 7                                  // 000000003218: D2890052 00010F03
	s_and_b32 s82, s82, 0xffffff                               // 000000003220: 8652FF52 00FFFFFF
	v_mul_lo_u32 v7, v4, s82                                   // 000000003228: D2850007 0000A504
	v_add_u32_e32 v53, v6, v7                                  // 000000003230: 686A0F06
	v_mul_lo_u32 v53, v53, s68                                 // 000000003234: D2850035 00008935
	v_readlane_b32 s82, v3, 8                                  // 00000000323C: D2890052 00011103
	s_and_b32 s82, s82, 0xffffff                               // 000000003244: 8652FF52 00FFFFFF
	v_mul_lo_u32 v6, v5, s82                                   // 00000000324C: D2850006 0000A505
	v_readlane_b32 s82, v3, 9                                  // 000000003254: D2890052 00011303
	s_and_b32 s82, s82, 0xffffff                               // 00000000325C: 8652FF52 00FFFFFF
	v_mul_lo_u32 v7, v4, s82                                   // 000000003264: D2850007 0000A504
	v_add_u32_e32 v54, v6, v7                                  // 00000000326C: 686C0F06
	v_mul_lo_u32 v54, v54, s68                                 // 000000003270: D2850036 00008936
	v_readlane_b32 s82, v3, 10                                 // 000000003278: D2890052 00011503
	s_and_b32 s82, s82, 0xffffff                               // 000000003280: 8652FF52 00FFFFFF
	v_mul_lo_u32 v6, v5, s82                                   // 000000003288: D2850006 0000A505
	v_readlane_b32 s82, v3, 11                                 // 000000003290: D2890052 00011703
	s_and_b32 s82, s82, 0xffffff                               // 000000003298: 8652FF52 00FFFFFF
	v_mul_lo_u32 v7, v4, s82                                   // 0000000032A0: D2850007 0000A504
	v_add_u32_e32 v55, v6, v7                                  // 0000000032A8: 686E0F06
	v_mul_lo_u32 v55, v55, s68                                 // 0000000032AC: D2850037 00008937
	v_readlane_b32 s82, v3, 12                                 // 0000000032B4: D2890052 00011903
	s_and_b32 s82, s82, 0xffffff                               // 0000000032BC: 8652FF52 00FFFFFF
	v_mul_lo_u32 v6, v5, s82                                   // 0000000032C4: D2850006 0000A505
	v_readlane_b32 s82, v3, 13                                 // 0000000032CC: D2890052 00011B03
	s_and_b32 s82, s82, 0xffffff                               // 0000000032D4: 8652FF52 00FFFFFF
	v_mul_lo_u32 v7, v4, s82                                   // 0000000032DC: D2850007 0000A504
	v_add_u32_e32 v56, v6, v7                                  // 0000000032E4: 68700F06
	v_mul_lo_u32 v56, v56, s68                                 // 0000000032E8: D2850038 00008938
	v_readlane_b32 s82, v3, 14                                 // 0000000032F0: D2890052 00011D03
	s_and_b32 s82, s82, 0xffffff                               // 0000000032F8: 8652FF52 00FFFFFF
	v_mul_lo_u32 v6, v5, s82                                   // 000000003300: D2850006 0000A505
	v_readlane_b32 s82, v3, 15                                 // 000000003308: D2890052 00011F03
	s_and_b32 s82, s82, 0xffffff                               // 000000003310: 8652FF52 00FFFFFF
	v_mul_lo_u32 v7, v4, s82                                   // 000000003318: D2850007 0000A504
	v_add_u32_e32 v57, v6, v7                                  // 000000003320: 68720F06
	v_mul_lo_u32 v57, v57, s68                                 // 000000003324: D2850039 00008939
	v_readlane_b32 s82, v3, 16                                 // 00000000332C: D2890052 00012103
	s_and_b32 s82, s82, 0xffffff                               // 000000003334: 8652FF52 00FFFFFF
	v_mul_lo_u32 v6, v5, s82                                   // 00000000333C: D2850006 0000A505
	v_readlane_b32 s82, v3, 17                                 // 000000003344: D2890052 00012303
	s_and_b32 s82, s82, 0xffffff                               // 00000000334C: 8652FF52 00FFFFFF
	v_mul_lo_u32 v7, v4, s82                                   // 000000003354: D2850007 0000A504
	v_add_u32_e32 v58, v6, v7                                  // 00000000335C: 68740F06
	v_mul_lo_u32 v58, v58, s68                                 // 000000003360: D285003A 0000893A
	v_readlane_b32 s82, v3, 18                                 // 000000003368: D2890052 00012503
	s_and_b32 s82, s82, 0xffffff                               // 000000003370: 8652FF52 00FFFFFF
	v_mul_lo_u32 v6, v5, s82                                   // 000000003378: D2850006 0000A505
	v_readlane_b32 s82, v3, 19                                 // 000000003380: D2890052 00012703
	s_and_b32 s82, s82, 0xffffff                               // 000000003388: 8652FF52 00FFFFFF
	v_mul_lo_u32 v7, v4, s82                                   // 000000003390: D2850007 0000A504
	v_add_u32_e32 v59, v6, v7                                  // 000000003398: 68760F06
	v_mul_lo_u32 v59, v59, s68                                 // 00000000339C: D285003B 0000893B
	v_and_b32_e32 v4, 31, v0                                   // 0000000033A4: 2608009F
	v_lshlrev_b32_e32 v4, 2, v4                                // 0000000033A8: 24080882
	v_add_u32_e32 v50, v50, v4                                 // 0000000033AC: 68640932
	v_add_u32_e32 v51, v51, v4                                 // 0000000033B0: 68660933
	v_add_u32_e32 v52, v52, v4                                 // 0000000033B4: 68680934
	v_add_u32_e32 v53, v53, v4                                 // 0000000033B8: 686A0935
	v_add_u32_e32 v54, v54, v4                                 // 0000000033BC: 686C0936
	v_add_u32_e32 v55, v55, v4                                 // 0000000033C0: 686E0937
	v_add_u32_e32 v56, v56, v4                                 // 0000000033C4: 68700938
	v_add_u32_e32 v57, v57, v4                                 // 0000000033C8: 68720939
	v_add_u32_e32 v58, v58, v4                                 // 0000000033CC: 6874093A
	v_add_u32_e32 v59, v59, v4                                 // 0000000033D0: 6876093B
	v_and_b32_e32 v30, 0xffffff, v30                           // 0000000033D4: 263C3CFF 00FFFFFF
	v_lshlrev_b32_e32 v30, 2, v30                              // 0000000033DC: 243C3C82
	v_and_b32_e32 v31, 0xffffff, v31                           // 0000000033E0: 263E3EFF 00FFFFFF
	v_lshlrev_b32_e32 v31, 2, v31                              // 0000000033E8: 243E3E82
	v_and_b32_e32 v32, 0xffffff, v32                           // 0000000033EC: 264040FF 00FFFFFF
	v_lshlrev_b32_e32 v32, 2, v32                              // 0000000033F4: 24404082
	v_and_b32_e32 v33, 0xffffff, v33                           // 0000000033F8: 264242FF 00FFFFFF
	v_lshlrev_b32_e32 v33, 2, v33                              // 000000003400: 24424282
	v_and_b32_e32 v34, 0xffffff, v34                           // 000000003404: 264444FF 00FFFFFF
	v_lshlrev_b32_e32 v34, 2, v34                              // 00000000340C: 24444482
	s_lshl_b32 s3, s66, 2                                      // 000000003410: 8E038242
	buffer_load_dword v50, s[20:23], 0 offen lds               // 000000003414: E0511000 80050032
	s_add_u32 m0, 0x100, s48                                   // 00000000341C: 807C30FF 00000100
	buffer_load_dword v51, s[20:23], 0 offen lds               // 000000003424: E0511000 80050033
	s_add_u32 m0, 0x200, s48                                   // 00000000342C: 807C30FF 00000200
	buffer_load_dword v52, s[20:23], 0 offen lds               // 000000003434: E0511000 80050034
	s_add_u32 m0, 0x300, s48                                   // 00000000343C: 807C30FF 00000300
	buffer_load_dword v53, s[20:23], 0 offen lds               // 000000003444: E0511000 80050035
	s_add_u32 m0, 0x400, s48                                   // 00000000344C: 807C30FF 00000400
	buffer_load_dword v54, s[20:23], 0 offen lds               // 000000003454: E0511000 80050036
	s_add_u32 m0, 0x500, s48                                   // 00000000345C: 807C30FF 00000500
	buffer_load_dword v55, s[20:23], 0 offen lds               // 000000003464: E0511000 80050037
	s_add_u32 m0, 0x600, s48                                   // 00000000346C: 807C30FF 00000600
	buffer_load_dword v56, s[20:23], 0 offen lds               // 000000003474: E0511000 80050038
	s_add_u32 m0, 0x700, s48                                   // 00000000347C: 807C30FF 00000700
	buffer_load_dword v57, s[20:23], 0 offen lds               // 000000003484: E0511000 80050039
	s_add_u32 m0, 0x800, s48                                   // 00000000348C: 807C30FF 00000800
	buffer_load_dword v58, s[20:23], 0 offen lds               // 000000003494: E0511000 8005003A
	s_add_u32 m0, 0x900, s48                                   // 00000000349C: 807C30FF 00000900
	buffer_load_dword v59, s[20:23], 0 offen lds               // 0000000034A4: E0511000 8005003B
	s_add_u32 m0, 0, s49                                       // 0000000034AC: 807C3180
	s_add_u32 s20, s57, s20                                    // 0000000034B0: 80141439
	s_addc_u32 s21, 0, s21                                     // 0000000034B4: 82151580
	buffer_load_dword v35, v30, s[28:31], 0 offen              // 0000000034B8: E0501000 8007231E
	buffer_load_dword v36, v31, s[28:31], 0 offen              // 0000000034C0: E0501000 8007241F
	buffer_load_dword v37, v32, s[28:31], 0 offen              // 0000000034C8: E0501000 80072520
	buffer_load_dword v38, v33, s[28:31], 0 offen              // 0000000034D0: E0501000 80072621
	buffer_load_dword v39, v34, s[28:31], 0 offen              // 0000000034D8: E0501000 80072722
	s_add_u32 s28, s3, s28                                     // 0000000034E0: 801C1C03
	s_addc_u32 s29, 0, s29                                     // 0000000034E4: 821D1D80
	buffer_load_dwordx4 a[80:83], v60, s[24:27], 0 offen       // 0000000034E8: E05C1000 8086503C
	buffer_load_dwordx4 a[84:87], v60, s[24:27], 0 offen offset:1024// 0000000034F0: E05C1400 8086543C
	buffer_load_dwordx4 a[88:91], v61, s[24:27], 0 offen       // 0000000034F8: E05C1000 8086583D
	buffer_load_dwordx4 a[92:95], v61, s[24:27], 0 offen offset:1024// 000000003500: E05C1400 80865C3D
	buffer_load_dwordx4 a[96:99], v62, s[24:27], 0 offen       // 000000003508: E05C1000 8086603E
	buffer_load_dwordx4 a[100:103], v62, s[24:27], 0 offen offset:1024// 000000003510: E05C1400 8086643E
	buffer_load_dwordx4 a[104:107], v63, s[24:27], 0 offen     // 000000003518: E05C1000 8086683F
	buffer_load_dwordx4 a[108:111], v63, s[24:27], 0 offen offset:1024// 000000003520: E05C1400 80866C3F
	s_add_u32 s24, s58, s24                                    // 000000003528: 8018183A
	s_addc_u32 s25, 0, s25                                     // 00000000352C: 82191980
	buffer_load_dword v24, v22, s[32:35], 0 offen              // 000000003530: E0501000 80081816
	buffer_load_dword v50, s[20:23], 0 offen lds               // 000000003538: E0511000 80050032
	s_add_u32 m0, 0x100, s49                                   // 000000003540: 807C31FF 00000100
	buffer_load_dword v51, s[20:23], 0 offen lds               // 000000003548: E0511000 80050033
	s_add_u32 m0, 0x200, s49                                   // 000000003550: 807C31FF 00000200
	;; [unrolled: 2-line block ×6, first 2 shown]
	buffer_load_dword v56, s[20:23], 0 offen lds               // 000000003598: E0511000 80050038
	s_add_u32 m0, 0x700, s49                                   // 0000000035A0: 807C31FF 00000700
	buffer_load_dword v57, s[20:23], 0 offen lds               // 0000000035A8: E0511000 80050039
	s_add_u32 m0, 0x800, s49                                   // 0000000035B0: 807C31FF 00000800
	buffer_load_dword v58, s[20:23], 0 offen lds               // 0000000035B8: E0511000 8005003A
	s_add_u32 m0, 0x900, s49                                   // 0000000035C0: 807C31FF 00000900
	buffer_load_dword v59, s[20:23], 0 offen lds               // 0000000035C8: E0511000 8005003B
	s_add_u32 m0, 0, s50                                       // 0000000035D0: 807C3280
	s_add_u32 s20, s57, s20                                    // 0000000035D4: 80141439
	s_addc_u32 s21, 0, s21                                     // 0000000035D8: 82151580
	buffer_load_dword v40, v30, s[28:31], 0 offen              // 0000000035DC: E0501000 8007281E
	buffer_load_dword v41, v31, s[28:31], 0 offen              // 0000000035E4: E0501000 8007291F
	buffer_load_dword v42, v32, s[28:31], 0 offen              // 0000000035EC: E0501000 80072A20
	buffer_load_dword v43, v33, s[28:31], 0 offen              // 0000000035F4: E0501000 80072B21
	buffer_load_dword v44, v34, s[28:31], 0 offen              // 0000000035FC: E0501000 80072C22
	s_add_u32 s28, s3, s28                                     // 000000003604: 801C1C03
	s_addc_u32 s29, 0, s29                                     // 000000003608: 821D1D80
	buffer_load_dwordx4 a[112:115], v60, s[84:87], 0 offen     // 00000000360C: E05C1000 8095703C
	buffer_load_dwordx4 a[116:119], v60, s[84:87], 0 offen offset:1024// 000000003614: E05C1400 8095743C
	buffer_load_dwordx4 a[120:123], v61, s[84:87], 0 offen     // 00000000361C: E05C1000 8095783D
	buffer_load_dwordx4 a[124:127], v61, s[84:87], 0 offen offset:1024// 000000003624: E05C1400 80957C3D
	buffer_load_dwordx4 a[128:131], v62, s[84:87], 0 offen     // 00000000362C: E05C1000 8095803E
	buffer_load_dwordx4 a[132:135], v62, s[84:87], 0 offen offset:1024// 000000003634: E05C1400 8095843E
	buffer_load_dwordx4 a[136:139], v63, s[84:87], 0 offen     // 00000000363C: E05C1000 8095883F
	buffer_load_dwordx4 a[140:143], v63, s[84:87], 0 offen offset:1024// 000000003644: E05C1400 80958C3F
	s_add_u32 s84, s83, s84                                    // 00000000364C: 80545453
	s_addc_u32 s85, 0, s85                                     // 000000003650: 82555580
	buffer_load_dword v27, v23, s[32:35], 0 offen              // 000000003654: E0501000 80081B17
	s_add_u32 s32, s4, s32                                     // 00000000365C: 80202004
	s_addc_u32 s33, 0, s33                                     // 000000003660: 82212180
	s_waitcnt vmcnt(38)                                        // 000000003664: BF8C8F76
	s_barrier                                                  // 000000003668: BF8A0000
	ds_read_b128 a[0:3], v2                                    // 00000000366C: DBFE0000 00000002
	ds_read_b128 a[4:7], v2 offset:64                          // 000000003674: DBFE0040 04000002
	ds_read_b128 a[8:11], v2 offset:512                        // 00000000367C: DBFE0200 08000002
	ds_read_b128 a[12:15], v2 offset:576                       // 000000003684: DBFE0240 0C000002
	ds_read_b128 a[16:19], v2 offset:1024                      // 00000000368C: DBFE0400 10000002
	ds_read_b128 a[20:23], v2 offset:1088                      // 000000003694: DBFE0440 14000002
	ds_read_b128 a[24:27], v2 offset:1536                      // 00000000369C: DBFE0600 18000002
	ds_read_b128 a[28:31], v2 offset:1600                      // 0000000036A4: DBFE0640 1C000002
	ds_read_b128 a[32:35], v2 offset:2048                      // 0000000036AC: DBFE0800 20000002
	ds_read_b128 a[36:39], v2 offset:2112                      // 0000000036B4: DBFE0840 24000002
	s_cmp_lt_i32 s7, 2                                         // 0000000036BC: BF048207
	s_cbranch_scc0 label_288C                                  // 0000000036C0: BF842558

00000000000036c4 <label_0331>:
	s_waitcnt vmcnt(24) lgkmcnt(0)                             // 0000000036C4: BF8C4078
	v_mul_f32_dpp v4, v24, v35 row_newbcast:0 row_mask:0xf bank_mask:0xf// 0000000036C8: 0A0846FA FF015018
	v_mfma_f32_16x16x32_fp8_fp8 v[8:11], a[80:81], a[0:1], 0   // 0000000036D0: D3F30008 1A020150
	buffer_load_dword v25, v22, s[32:35], 0 offen              // 0000000036D8: E0501000 80081916
	v_mfma_f32_16x16x32_fp8_fp8 v[8:11], a[82:83], a[2:3], v[8:11]// 0000000036E0: D3F30008 1C220552
	buffer_load_dwordx4 a[144:147], v60, s[24:27], 0 offen     // 0000000036E8: E05C1000 8086903C
	v_mfma_f32_16x16x32_fp8_fp8 v[8:11], a[84:85], a[4:5], v[8:11]// 0000000036F0: D3F30008 1C220954
	v_mfma_f32_16x16x32_fp8_fp8 v[8:11], a[86:87], a[6:7], v[8:11]// 0000000036F8: D3F30008 1C220D56
	v_mfma_f32_16x16x32_fp8_fp8 v[12:15], a[88:89], a[0:1], 0  // 000000003700: D3F3000C 1A020158
	v_mfma_f32_16x16x32_fp8_fp8 v[12:15], a[90:91], a[2:3], v[12:15]// 000000003708: D3F3000C 1C32055A
	buffer_load_dwordx4 a[148:151], v60, s[24:27], 0 offen offset:1024// 000000003710: E05C1400 8086943C
	v_mfma_f32_16x16x32_fp8_fp8 v[12:15], a[92:93], a[4:5], v[12:15]// 000000003718: D3F3000C 1C32095C
	v_mfma_f32_16x16x32_fp8_fp8 v[12:15], a[94:95], a[6:7], v[12:15]// 000000003720: D3F3000C 1C320D5E
	v_fma_f32 v64, v8, v4, v64                                 // 000000003728: D1CB0040 05020908
	v_fma_f32 v65, v9, v4, v65                                 // 000000003730: D1CB0041 05060909
	v_fma_f32 v66, v10, v4, v66                                // 000000003738: D1CB0042 050A090A
	v_fma_f32 v67, v11, v4, v67                                // 000000003740: D1CB0043 050E090B
	v_mul_f32_dpp v6, v24, v35 row_newbcast:1 row_mask:0xf bank_mask:0xf// 000000003748: 0A0C46FA FF015118
	v_mfma_f32_16x16x32_fp8_fp8 v[8:11], a[96:97], a[0:1], 0   // 000000003750: D3F30008 1A020160
	v_mfma_f32_16x16x32_fp8_fp8 v[8:11], a[98:99], a[2:3], v[8:11]// 000000003758: D3F30008 1C220562
	buffer_load_dwordx4 a[152:155], v61, s[24:27], 0 offen     // 000000003760: E05C1000 8086983D
	v_mfma_f32_16x16x32_fp8_fp8 v[8:11], a[100:101], a[4:5], v[8:11]// 000000003768: D3F30008 1C220964
	v_mfma_f32_16x16x32_fp8_fp8 v[8:11], a[102:103], a[6:7], v[8:11]// 000000003770: D3F30008 1C220D66
	v_fma_f32 v84, v12, v4, v84                                // 000000003778: D1CB0054 0552090C
	v_fma_f32 v85, v13, v4, v85                                // 000000003780: D1CB0055 0556090D
	v_fma_f32 v86, v14, v4, v86                                // 000000003788: D1CB0056 055A090E
	v_fma_f32 v87, v15, v4, v87                                // 000000003790: D1CB0057 055E090F
	v_mfma_f32_16x16x32_fp8_fp8 v[12:15], a[104:105], a[0:1], 0// 000000003798: D3F3000C 1A020168
	v_mfma_f32_16x16x32_fp8_fp8 v[12:15], a[106:107], a[2:3], v[12:15]// 0000000037A0: D3F3000C 1C32056A
	buffer_load_dwordx4 a[156:159], v61, s[24:27], 0 offen offset:1024// 0000000037A8: E05C1400 80869C3D
	v_mfma_f32_16x16x32_fp8_fp8 v[12:15], a[108:109], a[4:5], v[12:15]// 0000000037B0: D3F3000C 1C32096C
	v_mfma_f32_16x16x32_fp8_fp8 v[12:15], a[110:111], a[6:7], v[12:15]// 0000000037B8: D3F3000C 1C320D6E
	v_fma_f32 v104, v8, v6, v104                               // 0000000037C0: D1CB0068 05A20D08
	v_fma_f32 v105, v9, v6, v105                               // 0000000037C8: D1CB0069 05A60D09
	v_fma_f32 v106, v10, v6, v106                              // 0000000037D0: D1CB006A 05AA0D0A
	v_fma_f32 v107, v11, v6, v107                              // 0000000037D8: D1CB006B 05AE0D0B
	v_mul_f32_dpp v4, v24, v36 row_newbcast:0 row_mask:0xf bank_mask:0xf// 0000000037E0: 0A0848FA FF015018
	v_mfma_f32_16x16x32_fp8_fp8 v[8:11], a[80:81], a[8:9], 0   // 0000000037E8: D3F30008 1A021150
	v_mfma_f32_16x16x32_fp8_fp8 v[8:11], a[82:83], a[10:11], v[8:11]// 0000000037F0: D3F30008 1C221552
	buffer_load_dwordx4 a[160:163], v62, s[24:27], 0 offen     // 0000000037F8: E05C1000 8086A03E
	v_mfma_f32_16x16x32_fp8_fp8 v[8:11], a[84:85], a[12:13], v[8:11]// 000000003800: D3F30008 1C221954
	v_mfma_f32_16x16x32_fp8_fp8 v[8:11], a[86:87], a[14:15], v[8:11]// 000000003808: D3F30008 1C221D56
	v_fma_f32 v124, v12, v6, v124                              // 000000003810: D1CB007C 05F20D0C
	v_fma_f32 v125, v13, v6, v125                              // 000000003818: D1CB007D 05F60D0D
	v_fma_f32 v126, v14, v6, v126                              // 000000003820: D1CB007E 05FA0D0E
	v_fma_f32 v127, v15, v6, v127                              // 000000003828: D1CB007F 05FE0D0F
	v_mfma_f32_16x16x32_fp8_fp8 v[12:15], a[88:89], a[8:9], 0  // 000000003830: D3F3000C 1A021158
	v_mfma_f32_16x16x32_fp8_fp8 v[12:15], a[90:91], a[10:11], v[12:15]// 000000003838: D3F3000C 1C32155A
	buffer_load_dwordx4 a[164:167], v62, s[24:27], 0 offen offset:1024// 000000003840: E05C1400 8086A43E
	v_mfma_f32_16x16x32_fp8_fp8 v[12:15], a[92:93], a[12:13], v[12:15]// 000000003848: D3F3000C 1C32195C
	v_mfma_f32_16x16x32_fp8_fp8 v[12:15], a[94:95], a[14:15], v[12:15]// 000000003850: D3F3000C 1C321D5E
	v_fma_f32 v68, v8, v4, v68                                 // 000000003858: D1CB0044 05120908
	v_fma_f32 v69, v9, v4, v69                                 // 000000003860: D1CB0045 05160909
	v_fma_f32 v70, v10, v4, v70                                // 000000003868: D1CB0046 051A090A
	v_fma_f32 v71, v11, v4, v71                                // 000000003870: D1CB0047 051E090B
	v_mul_f32_dpp v6, v24, v36 row_newbcast:1 row_mask:0xf bank_mask:0xf// 000000003878: 0A0C48FA FF015118
	v_mfma_f32_16x16x32_fp8_fp8 v[8:11], a[96:97], a[8:9], 0   // 000000003880: D3F30008 1A021160
	v_mfma_f32_16x16x32_fp8_fp8 v[8:11], a[98:99], a[10:11], v[8:11]// 000000003888: D3F30008 1C221562
	buffer_load_dwordx4 a[168:171], v63, s[24:27], 0 offen     // 000000003890: E05C1000 8086A83F
	v_mfma_f32_16x16x32_fp8_fp8 v[8:11], a[100:101], a[12:13], v[8:11]// 000000003898: D3F30008 1C221964
	v_mfma_f32_16x16x32_fp8_fp8 v[8:11], a[102:103], a[14:15], v[8:11]// 0000000038A0: D3F30008 1C221D66
	v_fma_f32 v88, v12, v4, v88                                // 0000000038A8: D1CB0058 0562090C
	v_fma_f32 v89, v13, v4, v89                                // 0000000038B0: D1CB0059 0566090D
	v_fma_f32 v90, v14, v4, v90                                // 0000000038B8: D1CB005A 056A090E
	v_fma_f32 v91, v15, v4, v91                                // 0000000038C0: D1CB005B 056E090F
	v_mfma_f32_16x16x32_fp8_fp8 v[12:15], a[104:105], a[8:9], 0// 0000000038C8: D3F3000C 1A021168
	v_mfma_f32_16x16x32_fp8_fp8 v[12:15], a[106:107], a[10:11], v[12:15]// 0000000038D0: D3F3000C 1C32156A
	buffer_load_dwordx4 a[172:175], v63, s[24:27], 0 offen offset:1024// 0000000038D8: E05C1400 8086AC3F
	buffer_load_dword v50, s[20:23], 0 offen lds               // 0000000038E0: E0511000 80050032
	s_add_u32 m0, 0x100, s50                                   // 0000000038E8: 807C32FF 00000100
	v_mfma_f32_16x16x32_fp8_fp8 v[12:15], a[108:109], a[12:13], v[12:15]// 0000000038F0: D3F3000C 1C32196C
	v_mfma_f32_16x16x32_fp8_fp8 v[12:15], a[110:111], a[14:15], v[12:15]// 0000000038F8: D3F3000C 1C321D6E
	buffer_load_dword v51, s[20:23], 0 offen lds               // 000000003900: E0511000 80050033
	s_add_u32 m0, 0x200, s50                                   // 000000003908: 807C32FF 00000200
	v_fma_f32 v108, v8, v6, v108                               // 000000003910: D1CB006C 05B20D08
	v_fma_f32 v109, v9, v6, v109                               // 000000003918: D1CB006D 05B60D09
	v_fma_f32 v110, v10, v6, v110                              // 000000003920: D1CB006E 05BA0D0A
	v_fma_f32 v111, v11, v6, v111                              // 000000003928: D1CB006F 05BE0D0B
	v_mul_f32_dpp v4, v24, v37 row_newbcast:0 row_mask:0xf bank_mask:0xf// 000000003930: 0A084AFA FF015018
	v_mfma_f32_16x16x32_fp8_fp8 v[8:11], a[80:81], a[16:17], 0 // 000000003938: D3F30008 1A022150
	v_mfma_f32_16x16x32_fp8_fp8 v[8:11], a[82:83], a[18:19], v[8:11]// 000000003940: D3F30008 1C222552
	buffer_load_dword v52, s[20:23], 0 offen lds               // 000000003948: E0511000 80050034
	s_add_u32 m0, 0x300, s50                                   // 000000003950: 807C32FF 00000300
	v_mfma_f32_16x16x32_fp8_fp8 v[8:11], a[84:85], a[20:21], v[8:11]// 000000003958: D3F30008 1C222954
	v_mfma_f32_16x16x32_fp8_fp8 v[8:11], a[86:87], a[22:23], v[8:11]// 000000003960: D3F30008 1C222D56
	buffer_load_dword v53, s[20:23], 0 offen lds               // 000000003968: E0511000 80050035
	s_add_u32 m0, 0x400, s50                                   // 000000003970: 807C32FF 00000400
	v_fma_f32 v128, v12, v6, v128                              // 000000003978: D1CB0080 06020D0C
	v_fma_f32 v129, v13, v6, v129                              // 000000003980: D1CB0081 06060D0D
	v_fma_f32 v130, v14, v6, v130                              // 000000003988: D1CB0082 060A0D0E
	v_fma_f32 v131, v15, v6, v131                              // 000000003990: D1CB0083 060E0D0F
	v_mfma_f32_16x16x32_fp8_fp8 v[12:15], a[88:89], a[16:17], 0// 000000003998: D3F3000C 1A022158
	v_mfma_f32_16x16x32_fp8_fp8 v[12:15], a[90:91], a[18:19], v[12:15]// 0000000039A0: D3F3000C 1C32255A
	buffer_load_dword v54, s[20:23], 0 offen lds               // 0000000039A8: E0511000 80050036
	s_add_u32 m0, 0x500, s50                                   // 0000000039B0: 807C32FF 00000500
	v_mfma_f32_16x16x32_fp8_fp8 v[12:15], a[92:93], a[20:21], v[12:15]// 0000000039B8: D3F3000C 1C32295C
	v_mfma_f32_16x16x32_fp8_fp8 v[12:15], a[94:95], a[22:23], v[12:15]// 0000000039C0: D3F3000C 1C322D5E
	buffer_load_dword v55, s[20:23], 0 offen lds               // 0000000039C8: E0511000 80050037
	s_add_u32 m0, 0x600, s50                                   // 0000000039D0: 807C32FF 00000600
	v_fma_f32 v72, v8, v4, v72                                 // 0000000039D8: D1CB0048 05220908
	v_fma_f32 v73, v9, v4, v73                                 // 0000000039E0: D1CB0049 05260909
	v_fma_f32 v74, v10, v4, v74                                // 0000000039E8: D1CB004A 052A090A
	v_fma_f32 v75, v11, v4, v75                                // 0000000039F0: D1CB004B 052E090B
	v_mul_f32_dpp v6, v24, v37 row_newbcast:1 row_mask:0xf bank_mask:0xf// 0000000039F8: 0A0C4AFA FF015118
	v_mfma_f32_16x16x32_fp8_fp8 v[8:11], a[96:97], a[16:17], 0 // 000000003A00: D3F30008 1A022160
	v_mfma_f32_16x16x32_fp8_fp8 v[8:11], a[98:99], a[18:19], v[8:11]// 000000003A08: D3F30008 1C222562
	buffer_load_dword v56, s[20:23], 0 offen lds               // 000000003A10: E0511000 80050038
	s_add_u32 m0, 0x700, s50                                   // 000000003A18: 807C32FF 00000700
	v_mfma_f32_16x16x32_fp8_fp8 v[8:11], a[100:101], a[20:21], v[8:11]// 000000003A20: D3F30008 1C222964
	v_mfma_f32_16x16x32_fp8_fp8 v[8:11], a[102:103], a[22:23], v[8:11]// 000000003A28: D3F30008 1C222D66
	buffer_load_dword v57, s[20:23], 0 offen lds               // 000000003A30: E0511000 80050039
	s_add_u32 m0, 0x800, s50                                   // 000000003A38: 807C32FF 00000800
	v_fma_f32 v92, v12, v4, v92                                // 000000003A40: D1CB005C 0572090C
	v_fma_f32 v93, v13, v4, v93                                // 000000003A48: D1CB005D 0576090D
	v_fma_f32 v94, v14, v4, v94                                // 000000003A50: D1CB005E 057A090E
	v_fma_f32 v95, v15, v4, v95                                // 000000003A58: D1CB005F 057E090F
	v_mfma_f32_16x16x32_fp8_fp8 v[12:15], a[104:105], a[16:17], 0// 000000003A60: D3F3000C 1A022168
	v_mfma_f32_16x16x32_fp8_fp8 v[12:15], a[106:107], a[18:19], v[12:15]// 000000003A68: D3F3000C 1C32256A
	buffer_load_dword v58, s[20:23], 0 offen lds               // 000000003A70: E0511000 8005003A
	s_add_u32 m0, 0x900, s50                                   // 000000003A78: 807C32FF 00000900
	v_mfma_f32_16x16x32_fp8_fp8 v[12:15], a[108:109], a[20:21], v[12:15]// 000000003A80: D3F3000C 1C32296C
	v_mfma_f32_16x16x32_fp8_fp8 v[12:15], a[110:111], a[22:23], v[12:15]// 000000003A88: D3F3000C 1C322D6E
	buffer_load_dword v59, s[20:23], 0 offen lds               // 000000003A90: E0511000 8005003B
	s_add_u32 m0, 0, s48                                       // 000000003A98: 807C3080
	v_fma_f32 v112, v8, v6, v112                               // 000000003A9C: D1CB0070 05C20D08
	v_fma_f32 v113, v9, v6, v113                               // 000000003AA4: D1CB0071 05C60D09
	v_fma_f32 v114, v10, v6, v114                              // 000000003AAC: D1CB0072 05CA0D0A
	v_fma_f32 v115, v11, v6, v115                              // 000000003AB4: D1CB0073 05CE0D0B
	v_mul_f32_dpp v4, v24, v38 row_newbcast:0 row_mask:0xf bank_mask:0xf// 000000003ABC: 0A084CFA FF015018
	v_mfma_f32_16x16x32_fp8_fp8 v[8:11], a[80:81], a[24:25], 0 // 000000003AC4: D3F30008 1A023150
	v_mfma_f32_16x16x32_fp8_fp8 v[8:11], a[82:83], a[26:27], v[8:11]// 000000003ACC: D3F30008 1C223552
	buffer_load_dword v45, v30, s[28:31], 0 offen              // 000000003AD4: E0501000 80072D1E
	v_mfma_f32_16x16x32_fp8_fp8 v[8:11], a[84:85], a[28:29], v[8:11]// 000000003ADC: D3F30008 1C223954
	v_mfma_f32_16x16x32_fp8_fp8 v[8:11], a[86:87], a[30:31], v[8:11]// 000000003AE4: D3F30008 1C223D56
	buffer_load_dword v46, v31, s[28:31], 0 offen              // 000000003AEC: E0501000 80072E1F
	v_fma_f32 v132, v12, v6, v132                              // 000000003AF4: D1CB0084 06120D0C
	v_fma_f32 v133, v13, v6, v133                              // 000000003AFC: D1CB0085 06160D0D
	v_fma_f32 v134, v14, v6, v134                              // 000000003B04: D1CB0086 061A0D0E
	v_fma_f32 v135, v15, v6, v135                              // 000000003B0C: D1CB0087 061E0D0F
	v_mfma_f32_16x16x32_fp8_fp8 v[12:15], a[88:89], a[24:25], 0// 000000003B14: D3F3000C 1A023158
	v_mfma_f32_16x16x32_fp8_fp8 v[12:15], a[90:91], a[26:27], v[12:15]// 000000003B1C: D3F3000C 1C32355A
	buffer_load_dword v47, v32, s[28:31], 0 offen              // 000000003B24: E0501000 80072F20
	v_mfma_f32_16x16x32_fp8_fp8 v[12:15], a[92:93], a[28:29], v[12:15]// 000000003B2C: D3F3000C 1C32395C
	v_mfma_f32_16x16x32_fp8_fp8 v[12:15], a[94:95], a[30:31], v[12:15]// 000000003B34: D3F3000C 1C323D5E
	buffer_load_dword v48, v33, s[28:31], 0 offen              // 000000003B3C: E0501000 80073021
	v_fma_f32 v76, v8, v4, v76                                 // 000000003B44: D1CB004C 05320908
	v_fma_f32 v77, v9, v4, v77                                 // 000000003B4C: D1CB004D 05360909
	v_fma_f32 v78, v10, v4, v78                                // 000000003B54: D1CB004E 053A090A
	v_fma_f32 v79, v11, v4, v79                                // 000000003B5C: D1CB004F 053E090B
	v_mul_f32_dpp v6, v24, v38 row_newbcast:1 row_mask:0xf bank_mask:0xf// 000000003B64: 0A0C4CFA FF015118
	v_mfma_f32_16x16x32_fp8_fp8 v[8:11], a[96:97], a[24:25], 0 // 000000003B6C: D3F30008 1A023160
	v_mfma_f32_16x16x32_fp8_fp8 v[8:11], a[98:99], a[26:27], v[8:11]// 000000003B74: D3F30008 1C223562
	buffer_load_dword v49, v34, s[28:31], 0 offen              // 000000003B7C: E0501000 80073122
	v_mfma_f32_16x16x32_fp8_fp8 v[8:11], a[100:101], a[28:29], v[8:11]// 000000003B84: D3F30008 1C223964
	v_mfma_f32_16x16x32_fp8_fp8 v[8:11], a[102:103], a[30:31], v[8:11]// 000000003B8C: D3F30008 1C223D66
	v_fma_f32 v96, v12, v4, v96                                // 000000003B94: D1CB0060 0582090C
	v_fma_f32 v97, v13, v4, v97                                // 000000003B9C: D1CB0061 0586090D
	v_fma_f32 v98, v14, v4, v98                                // 000000003BA4: D1CB0062 058A090E
	v_fma_f32 v99, v15, v4, v99                                // 000000003BAC: D1CB0063 058E090F
	v_mfma_f32_16x16x32_fp8_fp8 v[12:15], a[104:105], a[24:25], 0// 000000003BB4: D3F3000C 1A023168
	v_mfma_f32_16x16x32_fp8_fp8 v[12:15], a[106:107], a[26:27], v[12:15]// 000000003BBC: D3F3000C 1C32356A
	v_mfma_f32_16x16x32_fp8_fp8 v[12:15], a[108:109], a[28:29], v[12:15]// 000000003BC4: D3F3000C 1C32396C
	v_mfma_f32_16x16x32_fp8_fp8 v[12:15], a[110:111], a[30:31], v[12:15]// 000000003BCC: D3F3000C 1C323D6E
	v_fma_f32 v116, v8, v6, v116                               // 000000003BD4: D1CB0074 05D20D08
	v_fma_f32 v117, v9, v6, v117                               // 000000003BDC: D1CB0075 05D60D09
	v_fma_f32 v118, v10, v6, v118                              // 000000003BE4: D1CB0076 05DA0D0A
	v_fma_f32 v119, v11, v6, v119                              // 000000003BEC: D1CB0077 05DE0D0B
	v_mul_f32_dpp v4, v24, v39 row_newbcast:0 row_mask:0xf bank_mask:0xf// 000000003BF4: 0A084EFA FF015018
	v_mfma_f32_16x16x32_fp8_fp8 v[8:11], a[80:81], a[32:33], 0 // 000000003BFC: D3F30008 1A024150
	v_mfma_f32_16x16x32_fp8_fp8 v[8:11], a[82:83], a[34:35], v[8:11]// 000000003C04: D3F30008 1C224552
	v_mfma_f32_16x16x32_fp8_fp8 v[8:11], a[84:85], a[36:37], v[8:11]// 000000003C0C: D3F30008 1C224954
	v_mfma_f32_16x16x32_fp8_fp8 v[8:11], a[86:87], a[38:39], v[8:11]// 000000003C14: D3F30008 1C224D56
	v_fma_f32 v136, v12, v6, v136                              // 000000003C1C: D1CB0088 06220D0C
	v_fma_f32 v137, v13, v6, v137                              // 000000003C24: D1CB0089 06260D0D
	v_fma_f32 v138, v14, v6, v138                              // 000000003C2C: D1CB008A 062A0D0E
	v_fma_f32 v139, v15, v6, v139                              // 000000003C34: D1CB008B 062E0D0F
	v_mfma_f32_16x16x32_fp8_fp8 v[12:15], a[88:89], a[32:33], 0// 000000003C3C: D3F3000C 1A024158
	v_mfma_f32_16x16x32_fp8_fp8 v[12:15], a[90:91], a[34:35], v[12:15]// 000000003C44: D3F3000C 1C32455A
	v_mfma_f32_16x16x32_fp8_fp8 v[12:15], a[92:93], a[36:37], v[12:15]// 000000003C4C: D3F3000C 1C32495C
	v_mfma_f32_16x16x32_fp8_fp8 v[12:15], a[94:95], a[38:39], v[12:15]// 000000003C54: D3F3000C 1C324D5E
	v_fma_f32 v80, v8, v4, v80                                 // 000000003C5C: D1CB0050 05420908
	v_fma_f32 v81, v9, v4, v81                                 // 000000003C64: D1CB0051 05460909
	v_fma_f32 v82, v10, v4, v82                                // 000000003C6C: D1CB0052 054A090A
	v_fma_f32 v83, v11, v4, v83                                // 000000003C74: D1CB0053 054E090B
	v_mul_f32_dpp v6, v24, v39 row_newbcast:1 row_mask:0xf bank_mask:0xf// 000000003C7C: 0A0C4EFA FF015118
	v_mfma_f32_16x16x32_fp8_fp8 v[8:11], a[96:97], a[32:33], 0 // 000000003C84: D3F30008 1A024160
	v_mfma_f32_16x16x32_fp8_fp8 v[8:11], a[98:99], a[34:35], v[8:11]// 000000003C8C: D3F30008 1C224562
	v_mfma_f32_16x16x32_fp8_fp8 v[8:11], a[100:101], a[36:37], v[8:11]// 000000003C94: D3F30008 1C224964
	v_mfma_f32_16x16x32_fp8_fp8 v[8:11], a[102:103], a[38:39], v[8:11]// 000000003C9C: D3F30008 1C224D66
	v_fma_f32 v100, v12, v4, v100                              // 000000003CA4: D1CB0064 0592090C
	v_fma_f32 v101, v13, v4, v101                              // 000000003CAC: D1CB0065 0596090D
	v_fma_f32 v102, v14, v4, v102                              // 000000003CB4: D1CB0066 059A090E
	v_fma_f32 v103, v15, v4, v103                              // 000000003CBC: D1CB0067 059E090F
	v_mfma_f32_16x16x32_fp8_fp8 v[12:15], a[104:105], a[32:33], 0// 000000003CC4: D3F3000C 1A024168
	v_mfma_f32_16x16x32_fp8_fp8 v[12:15], a[106:107], a[34:35], v[12:15]// 000000003CCC: D3F3000C 1C32456A
	v_mfma_f32_16x16x32_fp8_fp8 v[12:15], a[108:109], a[36:37], v[12:15]// 000000003CD4: D3F3000C 1C32496C
	v_mfma_f32_16x16x32_fp8_fp8 v[12:15], a[110:111], a[38:39], v[12:15]// 000000003CDC: D3F3000C 1C324D6E
	v_fma_f32 v120, v8, v6, v120                               // 000000003CE4: D1CB0078 05E20D08
	v_fma_f32 v121, v9, v6, v121                               // 000000003CEC: D1CB0079 05E60D09
	v_fma_f32 v122, v10, v6, v122                              // 000000003CF4: D1CB007A 05EA0D0A
	v_fma_f32 v123, v11, v6, v123                              // 000000003CFC: D1CB007B 05EE0D0B
	v_fma_f32 v140, v12, v6, v140                              // 000000003D04: D1CB008C 06320D0C
	v_fma_f32 v141, v13, v6, v141                              // 000000003D0C: D1CB008D 06360D0D
	v_fma_f32 v142, v14, v6, v142                              // 000000003D14: D1CB008E 063A0D0E
	v_fma_f32 v143, v15, v6, v143                              // 000000003D1C: D1CB008F 063E0D0F
	s_waitcnt vmcnt(24)                                        // 000000003D24: BF8C4F78
	s_barrier                                                  // 000000003D28: BF8A0000
	v_mul_f32_dpp v4, v27, v35 row_newbcast:0 row_mask:0xf bank_mask:0xf// 000000003D2C: 0A0846FA FF01501B
	v_mfma_f32_16x16x32_fp8_fp8 v[8:11], a[112:113], a[0:1], 0 // 000000003D34: D3F30008 1A020170
	buffer_load_dword v28, v23, s[32:35], 0 offen              // 000000003D3C: E0501000 80081C17
	v_mfma_f32_16x16x32_fp8_fp8 v[8:11], a[114:115], a[2:3], v[8:11]// 000000003D44: D3F30008 1C220572
	buffer_load_dwordx4 a[80:83], v60, s[84:87], 0 offen       // 000000003D4C: E05C1000 8095503C
	v_mfma_f32_16x16x32_fp8_fp8 v[8:11], a[116:117], a[4:5], v[8:11]// 000000003D54: D3F30008 1C220974
	v_mfma_f32_16x16x32_fp8_fp8 v[8:11], a[118:119], a[6:7], v[8:11]// 000000003D5C: D3F30008 1C220D76
	ds_read_b128 a[40:43], v2 offset:10368                     // 000000003D64: DBFE2880 28000002
	ds_read_b128 a[44:47], v2 offset:10432                     // 000000003D6C: DBFE28C0 2C000002
	v_mfma_f32_16x16x32_fp8_fp8 v[12:15], a[120:121], a[0:1], 0// 000000003D74: D3F3000C 1A020178
	v_mfma_f32_16x16x32_fp8_fp8 v[12:15], a[122:123], a[2:3], v[12:15]// 000000003D7C: D3F3000C 1C32057A
	buffer_load_dwordx4 a[84:87], v60, s[84:87], 0 offen offset:1024// 000000003D84: E05C1400 8095543C
	v_mfma_f32_16x16x32_fp8_fp8 v[12:15], a[124:125], a[4:5], v[12:15]// 000000003D8C: D3F3000C 1C32097C
	v_mfma_f32_16x16x32_fp8_fp8 v[12:15], a[126:127], a[6:7], v[12:15]// 000000003D94: D3F3000C 1C320D7E
	ds_read_b128 a[48:51], v2 offset:10880                     // 000000003D9C: DBFE2A80 30000002
	ds_read_b128 a[52:55], v2 offset:10944                     // 000000003DA4: DBFE2AC0 34000002
	v_fma_f32 v144, v8, v4, v144                               // 000000003DAC: D1CB0090 06420908
	v_fma_f32 v145, v9, v4, v145                               // 000000003DB4: D1CB0091 06460909
	v_fma_f32 v146, v10, v4, v146                              // 000000003DBC: D1CB0092 064A090A
	v_fma_f32 v147, v11, v4, v147                              // 000000003DC4: D1CB0093 064E090B
	v_mul_f32_dpp v6, v27, v35 row_newbcast:1 row_mask:0xf bank_mask:0xf// 000000003DCC: 0A0C46FA FF01511B
	v_mfma_f32_16x16x32_fp8_fp8 v[8:11], a[128:129], a[0:1], 0 // 000000003DD4: D3F30008 1A020180
	v_mfma_f32_16x16x32_fp8_fp8 v[8:11], a[130:131], a[2:3], v[8:11]// 000000003DDC: D3F30008 1C220582
	buffer_load_dwordx4 a[88:91], v61, s[84:87], 0 offen       // 000000003DE4: E05C1000 8095583D
	v_mfma_f32_16x16x32_fp8_fp8 v[8:11], a[132:133], a[4:5], v[8:11]// 000000003DEC: D3F30008 1C220984
	v_mfma_f32_16x16x32_fp8_fp8 v[8:11], a[134:135], a[6:7], v[8:11]// 000000003DF4: D3F30008 1C220D86
	ds_read_b128 a[56:59], v2 offset:11392                     // 000000003DFC: DBFE2C80 38000002
	ds_read_b128 a[60:63], v2 offset:11456                     // 000000003E04: DBFE2CC0 3C000002
	v_fma_f32 v164, v12, v4, v164                              // 000000003E0C: D1CB00A4 0692090C
	v_fma_f32 v165, v13, v4, v165                              // 000000003E14: D1CB00A5 0696090D
	v_fma_f32 v166, v14, v4, v166                              // 000000003E1C: D1CB00A6 069A090E
	v_fma_f32 v167, v15, v4, v167                              // 000000003E24: D1CB00A7 069E090F
	v_mfma_f32_16x16x32_fp8_fp8 v[12:15], a[136:137], a[0:1], 0// 000000003E2C: D3F3000C 1A020188
	v_mfma_f32_16x16x32_fp8_fp8 v[12:15], a[138:139], a[2:3], v[12:15]// 000000003E34: D3F3000C 1C32058A
	buffer_load_dwordx4 a[92:95], v61, s[84:87], 0 offen offset:1024// 000000003E3C: E05C1400 80955C3D
	v_mfma_f32_16x16x32_fp8_fp8 v[12:15], a[140:141], a[4:5], v[12:15]// 000000003E44: D3F3000C 1C32098C
	v_mfma_f32_16x16x32_fp8_fp8 v[12:15], a[142:143], a[6:7], v[12:15]// 000000003E4C: D3F3000C 1C320D8E
	ds_read_b128 a[64:67], v2 offset:11904                     // 000000003E54: DBFE2E80 40000002
	ds_read_b128 a[68:71], v2 offset:11968                     // 000000003E5C: DBFE2EC0 44000002
	v_fma_f32 v184, v8, v6, v184                               // 000000003E64: D1CB00B8 06E20D08
	v_fma_f32 v185, v9, v6, v185                               // 000000003E6C: D1CB00B9 06E60D09
	v_fma_f32 v186, v10, v6, v186                              // 000000003E74: D1CB00BA 06EA0D0A
	v_fma_f32 v187, v11, v6, v187                              // 000000003E7C: D1CB00BB 06EE0D0B
	v_mul_f32_dpp v4, v27, v36 row_newbcast:0 row_mask:0xf bank_mask:0xf// 000000003E84: 0A0848FA FF01501B
	v_mfma_f32_16x16x32_fp8_fp8 v[8:11], a[112:113], a[8:9], 0 // 000000003E8C: D3F30008 1A021170
	v_mfma_f32_16x16x32_fp8_fp8 v[8:11], a[114:115], a[10:11], v[8:11]// 000000003E94: D3F30008 1C221572
	buffer_load_dwordx4 a[96:99], v62, s[84:87], 0 offen       // 000000003E9C: E05C1000 8095603E
	v_mfma_f32_16x16x32_fp8_fp8 v[8:11], a[116:117], a[12:13], v[8:11]// 000000003EA4: D3F30008 1C221974
	v_mfma_f32_16x16x32_fp8_fp8 v[8:11], a[118:119], a[14:15], v[8:11]// 000000003EAC: D3F30008 1C221D76
	ds_read_b128 a[72:75], v2 offset:12416                     // 000000003EB4: DBFE3080 48000002
	ds_read_b128 a[76:79], v2 offset:12480                     // 000000003EBC: DBFE30C0 4C000002
	v_fma_f32 v204, v12, v6, v204                              // 000000003EC4: D1CB00CC 07320D0C
	v_fma_f32 v205, v13, v6, v205                              // 000000003ECC: D1CB00CD 07360D0D
	v_fma_f32 v206, v14, v6, v206                              // 000000003ED4: D1CB00CE 073A0D0E
	v_fma_f32 v207, v15, v6, v207                              // 000000003EDC: D1CB00CF 073E0D0F
	v_mfma_f32_16x16x32_fp8_fp8 v[12:15], a[120:121], a[8:9], 0// 000000003EE4: D3F3000C 1A021178
	v_mfma_f32_16x16x32_fp8_fp8 v[12:15], a[122:123], a[10:11], v[12:15]// 000000003EEC: D3F3000C 1C32157A
	buffer_load_dwordx4 a[100:103], v62, s[84:87], 0 offen offset:1024// 000000003EF4: E05C1400 8095643E
	v_mfma_f32_16x16x32_fp8_fp8 v[12:15], a[124:125], a[12:13], v[12:15]// 000000003EFC: D3F3000C 1C32197C
	v_mfma_f32_16x16x32_fp8_fp8 v[12:15], a[126:127], a[14:15], v[12:15]// 000000003F04: D3F3000C 1C321D7E
	v_fma_f32 v148, v8, v4, v148                               // 000000003F0C: D1CB0094 06520908
	v_fma_f32 v149, v9, v4, v149                               // 000000003F14: D1CB0095 06560909
	v_fma_f32 v150, v10, v4, v150                              // 000000003F1C: D1CB0096 065A090A
	v_fma_f32 v151, v11, v4, v151                              // 000000003F24: D1CB0097 065E090B
	v_mul_f32_dpp v6, v27, v36 row_newbcast:1 row_mask:0xf bank_mask:0xf// 000000003F2C: 0A0C48FA FF01511B
	v_mfma_f32_16x16x32_fp8_fp8 v[8:11], a[128:129], a[8:9], 0 // 000000003F34: D3F30008 1A021180
	v_mfma_f32_16x16x32_fp8_fp8 v[8:11], a[130:131], a[10:11], v[8:11]// 000000003F3C: D3F30008 1C221582
	buffer_load_dwordx4 a[104:107], v63, s[84:87], 0 offen     // 000000003F44: E05C1000 8095683F
	v_mfma_f32_16x16x32_fp8_fp8 v[8:11], a[132:133], a[12:13], v[8:11]// 000000003F4C: D3F30008 1C221984
	v_mfma_f32_16x16x32_fp8_fp8 v[8:11], a[134:135], a[14:15], v[8:11]// 000000003F54: D3F30008 1C221D86
	v_fma_f32 v168, v12, v4, v168                              // 000000003F5C: D1CB00A8 06A2090C
	v_fma_f32 v169, v13, v4, v169                              // 000000003F64: D1CB00A9 06A6090D
	v_fma_f32 v170, v14, v4, v170                              // 000000003F6C: D1CB00AA 06AA090E
	v_fma_f32 v171, v15, v4, v171                              // 000000003F74: D1CB00AB 06AE090F
	v_mfma_f32_16x16x32_fp8_fp8 v[12:15], a[136:137], a[8:9], 0// 000000003F7C: D3F3000C 1A021188
	v_mfma_f32_16x16x32_fp8_fp8 v[12:15], a[138:139], a[10:11], v[12:15]// 000000003F84: D3F3000C 1C32158A
	buffer_load_dwordx4 a[108:111], v63, s[84:87], 0 offen offset:1024// 000000003F8C: E05C1400 80956C3F
	v_mfma_f32_16x16x32_fp8_fp8 v[12:15], a[140:141], a[12:13], v[12:15]// 000000003F94: D3F3000C 1C32198C
	v_mfma_f32_16x16x32_fp8_fp8 v[12:15], a[142:143], a[14:15], v[12:15]// 000000003F9C: D3F3000C 1C321D8E
	v_fma_f32 v188, v8, v6, v188                               // 000000003FA4: D1CB00BC 06F20D08
	v_fma_f32 v189, v9, v6, v189                               // 000000003FAC: D1CB00BD 06F60D09
	v_fma_f32 v190, v10, v6, v190                              // 000000003FB4: D1CB00BE 06FA0D0A
	v_fma_f32 v191, v11, v6, v191                              // 000000003FBC: D1CB00BF 06FE0D0B
	v_mul_f32_dpp v4, v27, v37 row_newbcast:0 row_mask:0xf bank_mask:0xf// 000000003FC4: 0A084AFA FF01501B
	v_mfma_f32_16x16x32_fp8_fp8 v[8:11], a[112:113], a[16:17], 0// 000000003FCC: D3F30008 1A022170
	v_mfma_f32_16x16x32_fp8_fp8 v[8:11], a[114:115], a[18:19], v[8:11]// 000000003FD4: D3F30008 1C222572
	v_mfma_f32_16x16x32_fp8_fp8 v[8:11], a[116:117], a[20:21], v[8:11]// 000000003FDC: D3F30008 1C222974
	v_mfma_f32_16x16x32_fp8_fp8 v[8:11], a[118:119], a[22:23], v[8:11]// 000000003FE4: D3F30008 1C222D76
	v_fma_f32 v208, v12, v6, v208                              // 000000003FEC: D1CB00D0 07420D0C
	v_fma_f32 v209, v13, v6, v209                              // 000000003FF4: D1CB00D1 07460D0D
	v_fma_f32 v210, v14, v6, v210                              // 000000003FFC: D1CB00D2 074A0D0E
	v_fma_f32 v211, v15, v6, v211                              // 000000004004: D1CB00D3 074E0D0F
	v_mfma_f32_16x16x32_fp8_fp8 v[12:15], a[120:121], a[16:17], 0// 00000000400C: D3F3000C 1A022178
	v_mfma_f32_16x16x32_fp8_fp8 v[12:15], a[122:123], a[18:19], v[12:15]// 000000004014: D3F3000C 1C32257A
	v_mfma_f32_16x16x32_fp8_fp8 v[12:15], a[124:125], a[20:21], v[12:15]// 00000000401C: D3F3000C 1C32297C
	v_mfma_f32_16x16x32_fp8_fp8 v[12:15], a[126:127], a[22:23], v[12:15]// 000000004024: D3F3000C 1C322D7E
	v_fma_f32 v152, v8, v4, v152                               // 00000000402C: D1CB0098 06620908
	v_fma_f32 v153, v9, v4, v153                               // 000000004034: D1CB0099 06660909
	v_fma_f32 v154, v10, v4, v154                              // 00000000403C: D1CB009A 066A090A
	v_fma_f32 v155, v11, v4, v155                              // 000000004044: D1CB009B 066E090B
	v_mul_f32_dpp v6, v27, v37 row_newbcast:1 row_mask:0xf bank_mask:0xf// 00000000404C: 0A0C4AFA FF01511B
	v_mfma_f32_16x16x32_fp8_fp8 v[8:11], a[128:129], a[16:17], 0// 000000004054: D3F30008 1A022180
	v_mfma_f32_16x16x32_fp8_fp8 v[8:11], a[130:131], a[18:19], v[8:11]// 00000000405C: D3F30008 1C222582
	v_mfma_f32_16x16x32_fp8_fp8 v[8:11], a[132:133], a[20:21], v[8:11]// 000000004064: D3F30008 1C222984
	v_mfma_f32_16x16x32_fp8_fp8 v[8:11], a[134:135], a[22:23], v[8:11]// 00000000406C: D3F30008 1C222D86
	v_fma_f32 v172, v12, v4, v172                              // 000000004074: D1CB00AC 06B2090C
	v_fma_f32 v173, v13, v4, v173                              // 00000000407C: D1CB00AD 06B6090D
	v_fma_f32 v174, v14, v4, v174                              // 000000004084: D1CB00AE 06BA090E
	v_fma_f32 v175, v15, v4, v175                              // 00000000408C: D1CB00AF 06BE090F
	v_mfma_f32_16x16x32_fp8_fp8 v[12:15], a[136:137], a[16:17], 0// 000000004094: D3F3000C 1A022188
	v_mfma_f32_16x16x32_fp8_fp8 v[12:15], a[138:139], a[18:19], v[12:15]// 00000000409C: D3F3000C 1C32258A
	v_mfma_f32_16x16x32_fp8_fp8 v[12:15], a[140:141], a[20:21], v[12:15]// 0000000040A4: D3F3000C 1C32298C
	v_mfma_f32_16x16x32_fp8_fp8 v[12:15], a[142:143], a[22:23], v[12:15]// 0000000040AC: D3F3000C 1C322D8E
	v_fma_f32 v192, v8, v6, v192                               // 0000000040B4: D1CB00C0 07020D08
	v_fma_f32 v193, v9, v6, v193                               // 0000000040BC: D1CB00C1 07060D09
	v_fma_f32 v194, v10, v6, v194                              // 0000000040C4: D1CB00C2 070A0D0A
	v_fma_f32 v195, v11, v6, v195                              // 0000000040CC: D1CB00C3 070E0D0B
	v_mul_f32_dpp v4, v27, v38 row_newbcast:0 row_mask:0xf bank_mask:0xf// 0000000040D4: 0A084CFA FF01501B
	v_mfma_f32_16x16x32_fp8_fp8 v[8:11], a[112:113], a[24:25], 0// 0000000040DC: D3F30008 1A023170
	v_mfma_f32_16x16x32_fp8_fp8 v[8:11], a[114:115], a[26:27], v[8:11]// 0000000040E4: D3F30008 1C223572
	v_mfma_f32_16x16x32_fp8_fp8 v[8:11], a[116:117], a[28:29], v[8:11]// 0000000040EC: D3F30008 1C223974
	v_mfma_f32_16x16x32_fp8_fp8 v[8:11], a[118:119], a[30:31], v[8:11]// 0000000040F4: D3F30008 1C223D76
	v_fma_f32 v212, v12, v6, v212                              // 0000000040FC: D1CB00D4 07520D0C
	v_fma_f32 v213, v13, v6, v213                              // 000000004104: D1CB00D5 07560D0D
	v_fma_f32 v214, v14, v6, v214                              // 00000000410C: D1CB00D6 075A0D0E
	v_fma_f32 v215, v15, v6, v215                              // 000000004114: D1CB00D7 075E0D0F
	v_mfma_f32_16x16x32_fp8_fp8 v[12:15], a[120:121], a[24:25], 0// 00000000411C: D3F3000C 1A023178
	v_mfma_f32_16x16x32_fp8_fp8 v[12:15], a[122:123], a[26:27], v[12:15]// 000000004124: D3F3000C 1C32357A
	v_mfma_f32_16x16x32_fp8_fp8 v[12:15], a[124:125], a[28:29], v[12:15]// 00000000412C: D3F3000C 1C32397C
	v_mfma_f32_16x16x32_fp8_fp8 v[12:15], a[126:127], a[30:31], v[12:15]// 000000004134: D3F3000C 1C323D7E
	v_fma_f32 v156, v8, v4, v156                               // 00000000413C: D1CB009C 06720908
	v_fma_f32 v157, v9, v4, v157                               // 000000004144: D1CB009D 06760909
	v_fma_f32 v158, v10, v4, v158                              // 00000000414C: D1CB009E 067A090A
	v_fma_f32 v159, v11, v4, v159                              // 000000004154: D1CB009F 067E090B
	v_mul_f32_dpp v6, v27, v38 row_newbcast:1 row_mask:0xf bank_mask:0xf// 00000000415C: 0A0C4CFA FF01511B
	v_mfma_f32_16x16x32_fp8_fp8 v[8:11], a[128:129], a[24:25], 0// 000000004164: D3F30008 1A023180
	v_mfma_f32_16x16x32_fp8_fp8 v[8:11], a[130:131], a[26:27], v[8:11]// 00000000416C: D3F30008 1C223582
	v_mfma_f32_16x16x32_fp8_fp8 v[8:11], a[132:133], a[28:29], v[8:11]// 000000004174: D3F30008 1C223984
	v_mfma_f32_16x16x32_fp8_fp8 v[8:11], a[134:135], a[30:31], v[8:11]// 00000000417C: D3F30008 1C223D86
	v_fma_f32 v176, v12, v4, v176                              // 000000004184: D1CB00B0 06C2090C
	v_fma_f32 v177, v13, v4, v177                              // 00000000418C: D1CB00B1 06C6090D
	v_fma_f32 v178, v14, v4, v178                              // 000000004194: D1CB00B2 06CA090E
	v_fma_f32 v179, v15, v4, v179                              // 00000000419C: D1CB00B3 06CE090F
	v_mfma_f32_16x16x32_fp8_fp8 v[12:15], a[136:137], a[24:25], 0// 0000000041A4: D3F3000C 1A023188
	v_mfma_f32_16x16x32_fp8_fp8 v[12:15], a[138:139], a[26:27], v[12:15]// 0000000041AC: D3F3000C 1C32358A
	v_mfma_f32_16x16x32_fp8_fp8 v[12:15], a[140:141], a[28:29], v[12:15]// 0000000041B4: D3F3000C 1C32398C
	v_mfma_f32_16x16x32_fp8_fp8 v[12:15], a[142:143], a[30:31], v[12:15]// 0000000041BC: D3F3000C 1C323D8E
	v_fma_f32 v196, v8, v6, v196                               // 0000000041C4: D1CB00C4 07120D08
	v_fma_f32 v197, v9, v6, v197                               // 0000000041CC: D1CB00C5 07160D09
	v_fma_f32 v198, v10, v6, v198                              // 0000000041D4: D1CB00C6 071A0D0A
	v_fma_f32 v199, v11, v6, v199                              // 0000000041DC: D1CB00C7 071E0D0B
	v_mul_f32_dpp v4, v27, v39 row_newbcast:0 row_mask:0xf bank_mask:0xf// 0000000041E4: 0A084EFA FF01501B
	v_mfma_f32_16x16x32_fp8_fp8 v[8:11], a[112:113], a[32:33], 0// 0000000041EC: D3F30008 1A024170
	v_mfma_f32_16x16x32_fp8_fp8 v[8:11], a[114:115], a[34:35], v[8:11]// 0000000041F4: D3F30008 1C224572
	v_mfma_f32_16x16x32_fp8_fp8 v[8:11], a[116:117], a[36:37], v[8:11]// 0000000041FC: D3F30008 1C224974
	v_mfma_f32_16x16x32_fp8_fp8 v[8:11], a[118:119], a[38:39], v[8:11]// 000000004204: D3F30008 1C224D76
	v_fma_f32 v216, v12, v6, v216                              // 00000000420C: D1CB00D8 07620D0C
	v_fma_f32 v217, v13, v6, v217                              // 000000004214: D1CB00D9 07660D0D
	v_fma_f32 v218, v14, v6, v218                              // 00000000421C: D1CB00DA 076A0D0E
	v_fma_f32 v219, v15, v6, v219                              // 000000004224: D1CB00DB 076E0D0F
	v_mfma_f32_16x16x32_fp8_fp8 v[12:15], a[120:121], a[32:33], 0// 00000000422C: D3F3000C 1A024178
	v_mfma_f32_16x16x32_fp8_fp8 v[12:15], a[122:123], a[34:35], v[12:15]// 000000004234: D3F3000C 1C32457A
	v_mfma_f32_16x16x32_fp8_fp8 v[12:15], a[124:125], a[36:37], v[12:15]// 00000000423C: D3F3000C 1C32497C
	v_mfma_f32_16x16x32_fp8_fp8 v[12:15], a[126:127], a[38:39], v[12:15]// 000000004244: D3F3000C 1C324D7E
	v_fma_f32 v160, v8, v4, v160                               // 00000000424C: D1CB00A0 06820908
	v_fma_f32 v161, v9, v4, v161                               // 000000004254: D1CB00A1 06860909
	v_fma_f32 v162, v10, v4, v162                              // 00000000425C: D1CB00A2 068A090A
	v_fma_f32 v163, v11, v4, v163                              // 000000004264: D1CB00A3 068E090B
	v_mul_f32_dpp v6, v27, v39 row_newbcast:1 row_mask:0xf bank_mask:0xf// 00000000426C: 0A0C4EFA FF01511B
	v_mfma_f32_16x16x32_fp8_fp8 v[8:11], a[128:129], a[32:33], 0// 000000004274: D3F30008 1A024180
	s_add_u32 s60, 0x180, s80                                  // 00000000427C: 803C50FF 00000180
	s_cmp_lt_u32 s60, s81                                      // 000000004284: BF0A513C
	s_cselect_b32 s57, s57, 0                                  // 000000004288: 85398039
	s_cselect_b32 s3, s3, 0                                    // 00000000428C: 85038003
	v_mfma_f32_16x16x32_fp8_fp8 v[8:11], a[130:131], a[34:35], v[8:11]// 000000004290: D3F30008 1C224582
	s_add_u32 s60, 0x100, s80                                  // 000000004298: 803C50FF 00000100
	s_cmp_lt_u32 s60, s81                                      // 0000000042A0: BF0A513C
	s_cselect_b32 s58, s58, 0                                  // 0000000042A4: 853A803A
	v_mfma_f32_16x16x32_fp8_fp8 v[8:11], a[132:133], a[36:37], v[8:11]// 0000000042A8: D3F30008 1C224984
	s_add_u32 s60, 0x100, s80                                  // 0000000042B0: 803C50FF 00000100
	s_cmp_lt_u32 s60, s81                                      // 0000000042B8: BF0A513C
	s_cselect_b32 s83, s83, 0                                  // 0000000042BC: 85538053
	s_cselect_b32 s4, s4, 0                                    // 0000000042C0: 85048004
	v_mfma_f32_16x16x32_fp8_fp8 v[8:11], a[134:135], a[38:39], v[8:11]// 0000000042C4: D3F30008 1C224D86
	s_add_u32 s24, s58, s24                                    // 0000000042CC: 8018183A
	s_addc_u32 s25, 0, s25                                     // 0000000042D0: 82191980
	v_fma_f32 v180, v12, v4, v180                              // 0000000042D4: D1CB00B4 06D2090C
	v_fma_f32 v181, v13, v4, v181                              // 0000000042DC: D1CB00B5 06D6090D
	v_fma_f32 v182, v14, v4, v182                              // 0000000042E4: D1CB00B6 06DA090E
	v_fma_f32 v183, v15, v4, v183                              // 0000000042EC: D1CB00B7 06DE090F
	v_mfma_f32_16x16x32_fp8_fp8 v[12:15], a[136:137], a[32:33], 0// 0000000042F4: D3F3000C 1A024188
	s_add_u32 s20, s57, s20                                    // 0000000042FC: 80141439
	s_addc_u32 s21, 0, s21                                     // 000000004300: 82151580
	s_add_u32 s28, s3, s28                                     // 000000004304: 801C1C03
	s_addc_u32 s29, 0, s29                                     // 000000004308: 821D1D80
	v_mfma_f32_16x16x32_fp8_fp8 v[12:15], a[138:139], a[34:35], v[12:15]// 00000000430C: D3F3000C 1C32458A
	s_add_u32 s84, s83, s84                                    // 000000004314: 80545453
	s_addc_u32 s85, 0, s85                                     // 000000004318: 82555580
	v_mfma_f32_16x16x32_fp8_fp8 v[12:15], a[140:141], a[36:37], v[12:15]// 00000000431C: D3F3000C 1C32498C
	s_add_u32 s32, s4, s32                                     // 000000004324: 80202004
	s_addc_u32 s33, 0, s33                                     // 000000004328: 82212180
	v_mfma_f32_16x16x32_fp8_fp8 v[12:15], a[142:143], a[38:39], v[12:15]// 00000000432C: D3F3000C 1C324D8E
	v_fma_f32 v200, v8, v6, v200                               // 000000004334: D1CB00C8 07220D08
	v_fma_f32 v201, v9, v6, v201                               // 00000000433C: D1CB00C9 07260D09
	v_fma_f32 v202, v10, v6, v202                              // 000000004344: D1CB00CA 072A0D0A
	v_fma_f32 v203, v11, v6, v203                              // 00000000434C: D1CB00CB 072E0D0B
	v_fma_f32 v220, v12, v6, v220                              // 000000004354: D1CB00DC 07720D0C
	v_fma_f32 v221, v13, v6, v221                              // 00000000435C: D1CB00DD 07760D0D
	v_fma_f32 v222, v14, v6, v222                              // 000000004364: D1CB00DE 077A0D0E
	v_fma_f32 v223, v15, v6, v223                              // 00000000436C: D1CB00DF 077E0D0F
	s_addk_i32 s80, 0x80                                       // 000000004374: B7500080
	s_cmp_lt_i32 s80, s81                                      // 000000004378: BF045150
	s_cbranch_scc0 label_164C                                  // 00000000437C: BF840FEC
	s_waitcnt vmcnt(24) lgkmcnt(0)                             // 000000004380: BF8C4078
	v_mul_f32_dpp v4, v25, v40 row_newbcast:0 row_mask:0xf bank_mask:0xf// 000000004384: 0A0850FA FF015019
	v_mfma_f32_16x16x32_fp8_fp8 v[8:11], a[144:145], a[40:41], 0// 00000000438C: D3F30008 1A025190
	buffer_load_dword v26, v22, s[32:35], 0 offen              // 000000004394: E0501000 80081A16
	v_mfma_f32_16x16x32_fp8_fp8 v[8:11], a[146:147], a[42:43], v[8:11]// 00000000439C: D3F30008 1C225592
	buffer_load_dwordx4 a[112:115], v60, s[24:27], 0 offen     // 0000000043A4: E05C1000 8086703C
	v_mfma_f32_16x16x32_fp8_fp8 v[8:11], a[148:149], a[44:45], v[8:11]// 0000000043AC: D3F30008 1C225994
	v_mfma_f32_16x16x32_fp8_fp8 v[8:11], a[150:151], a[46:47], v[8:11]// 0000000043B4: D3F30008 1C225D96
	v_mfma_f32_16x16x32_fp8_fp8 v[12:15], a[152:153], a[40:41], 0// 0000000043BC: D3F3000C 1A025198
	v_mfma_f32_16x16x32_fp8_fp8 v[12:15], a[154:155], a[42:43], v[12:15]// 0000000043C4: D3F3000C 1C32559A
	buffer_load_dwordx4 a[116:119], v60, s[24:27], 0 offen offset:1024// 0000000043CC: E05C1400 8086743C
	v_mfma_f32_16x16x32_fp8_fp8 v[12:15], a[156:157], a[44:45], v[12:15]// 0000000043D4: D3F3000C 1C32599C
	v_mfma_f32_16x16x32_fp8_fp8 v[12:15], a[158:159], a[46:47], v[12:15]// 0000000043DC: D3F3000C 1C325D9E
	v_fma_f32 v64, v8, v4, v64                                 // 0000000043E4: D1CB0040 05020908
	v_fma_f32 v65, v9, v4, v65                                 // 0000000043EC: D1CB0041 05060909
	v_fma_f32 v66, v10, v4, v66                                // 0000000043F4: D1CB0042 050A090A
	v_fma_f32 v67, v11, v4, v67                                // 0000000043FC: D1CB0043 050E090B
	v_mul_f32_dpp v6, v25, v40 row_newbcast:1 row_mask:0xf bank_mask:0xf// 000000004404: 0A0C50FA FF015119
	v_mfma_f32_16x16x32_fp8_fp8 v[8:11], a[160:161], a[40:41], 0// 00000000440C: D3F30008 1A0251A0
	v_mfma_f32_16x16x32_fp8_fp8 v[8:11], a[162:163], a[42:43], v[8:11]// 000000004414: D3F30008 1C2255A2
	buffer_load_dwordx4 a[120:123], v61, s[24:27], 0 offen     // 00000000441C: E05C1000 8086783D
	v_mfma_f32_16x16x32_fp8_fp8 v[8:11], a[164:165], a[44:45], v[8:11]// 000000004424: D3F30008 1C2259A4
	v_mfma_f32_16x16x32_fp8_fp8 v[8:11], a[166:167], a[46:47], v[8:11]// 00000000442C: D3F30008 1C225DA6
	v_fma_f32 v84, v12, v4, v84                                // 000000004434: D1CB0054 0552090C
	v_fma_f32 v85, v13, v4, v85                                // 00000000443C: D1CB0055 0556090D
	v_fma_f32 v86, v14, v4, v86                                // 000000004444: D1CB0056 055A090E
	v_fma_f32 v87, v15, v4, v87                                // 00000000444C: D1CB0057 055E090F
	v_mfma_f32_16x16x32_fp8_fp8 v[12:15], a[168:169], a[40:41], 0// 000000004454: D3F3000C 1A0251A8
	v_mfma_f32_16x16x32_fp8_fp8 v[12:15], a[170:171], a[42:43], v[12:15]// 00000000445C: D3F3000C 1C3255AA
	buffer_load_dwordx4 a[124:127], v61, s[24:27], 0 offen offset:1024// 000000004464: E05C1400 80867C3D
	v_mfma_f32_16x16x32_fp8_fp8 v[12:15], a[172:173], a[44:45], v[12:15]// 00000000446C: D3F3000C 1C3259AC
	v_mfma_f32_16x16x32_fp8_fp8 v[12:15], a[174:175], a[46:47], v[12:15]// 000000004474: D3F3000C 1C325DAE
	v_fma_f32 v104, v8, v6, v104                               // 00000000447C: D1CB0068 05A20D08
	v_fma_f32 v105, v9, v6, v105                               // 000000004484: D1CB0069 05A60D09
	v_fma_f32 v106, v10, v6, v106                              // 00000000448C: D1CB006A 05AA0D0A
	v_fma_f32 v107, v11, v6, v107                              // 000000004494: D1CB006B 05AE0D0B
	v_mul_f32_dpp v4, v25, v41 row_newbcast:0 row_mask:0xf bank_mask:0xf// 00000000449C: 0A0852FA FF015019
	v_mfma_f32_16x16x32_fp8_fp8 v[8:11], a[144:145], a[48:49], 0// 0000000044A4: D3F30008 1A026190
	v_mfma_f32_16x16x32_fp8_fp8 v[8:11], a[146:147], a[50:51], v[8:11]// 0000000044AC: D3F30008 1C226592
	buffer_load_dwordx4 a[128:131], v62, s[24:27], 0 offen     // 0000000044B4: E05C1000 8086803E
	v_mfma_f32_16x16x32_fp8_fp8 v[8:11], a[148:149], a[52:53], v[8:11]// 0000000044BC: D3F30008 1C226994
	v_mfma_f32_16x16x32_fp8_fp8 v[8:11], a[150:151], a[54:55], v[8:11]// 0000000044C4: D3F30008 1C226D96
	v_fma_f32 v124, v12, v6, v124                              // 0000000044CC: D1CB007C 05F20D0C
	v_fma_f32 v125, v13, v6, v125                              // 0000000044D4: D1CB007D 05F60D0D
	v_fma_f32 v126, v14, v6, v126                              // 0000000044DC: D1CB007E 05FA0D0E
	v_fma_f32 v127, v15, v6, v127                              // 0000000044E4: D1CB007F 05FE0D0F
	v_mfma_f32_16x16x32_fp8_fp8 v[12:15], a[152:153], a[48:49], 0// 0000000044EC: D3F3000C 1A026198
	v_mfma_f32_16x16x32_fp8_fp8 v[12:15], a[154:155], a[50:51], v[12:15]// 0000000044F4: D3F3000C 1C32659A
	buffer_load_dwordx4 a[132:135], v62, s[24:27], 0 offen offset:1024// 0000000044FC: E05C1400 8086843E
	v_mfma_f32_16x16x32_fp8_fp8 v[12:15], a[156:157], a[52:53], v[12:15]// 000000004504: D3F3000C 1C32699C
	v_mfma_f32_16x16x32_fp8_fp8 v[12:15], a[158:159], a[54:55], v[12:15]// 00000000450C: D3F3000C 1C326D9E
	v_fma_f32 v68, v8, v4, v68                                 // 000000004514: D1CB0044 05120908
	v_fma_f32 v69, v9, v4, v69                                 // 00000000451C: D1CB0045 05160909
	v_fma_f32 v70, v10, v4, v70                                // 000000004524: D1CB0046 051A090A
	v_fma_f32 v71, v11, v4, v71                                // 00000000452C: D1CB0047 051E090B
	v_mul_f32_dpp v6, v25, v41 row_newbcast:1 row_mask:0xf bank_mask:0xf// 000000004534: 0A0C52FA FF015119
	v_mfma_f32_16x16x32_fp8_fp8 v[8:11], a[160:161], a[48:49], 0// 00000000453C: D3F30008 1A0261A0
	v_mfma_f32_16x16x32_fp8_fp8 v[8:11], a[162:163], a[50:51], v[8:11]// 000000004544: D3F30008 1C2265A2
	buffer_load_dwordx4 a[136:139], v63, s[24:27], 0 offen     // 00000000454C: E05C1000 8086883F
	v_mfma_f32_16x16x32_fp8_fp8 v[8:11], a[164:165], a[52:53], v[8:11]// 000000004554: D3F30008 1C2269A4
	v_mfma_f32_16x16x32_fp8_fp8 v[8:11], a[166:167], a[54:55], v[8:11]// 00000000455C: D3F30008 1C226DA6
	v_fma_f32 v88, v12, v4, v88                                // 000000004564: D1CB0058 0562090C
	v_fma_f32 v89, v13, v4, v89                                // 00000000456C: D1CB0059 0566090D
	v_fma_f32 v90, v14, v4, v90                                // 000000004574: D1CB005A 056A090E
	v_fma_f32 v91, v15, v4, v91                                // 00000000457C: D1CB005B 056E090F
	v_mfma_f32_16x16x32_fp8_fp8 v[12:15], a[168:169], a[48:49], 0// 000000004584: D3F3000C 1A0261A8
	v_mfma_f32_16x16x32_fp8_fp8 v[12:15], a[170:171], a[50:51], v[12:15]// 00000000458C: D3F3000C 1C3265AA
	buffer_load_dwordx4 a[140:143], v63, s[24:27], 0 offen offset:1024// 000000004594: E05C1400 80868C3F
	buffer_load_dword v50, s[20:23], 0 offen lds               // 00000000459C: E0511000 80050032
	s_add_u32 m0, 0x100, s48                                   // 0000000045A4: 807C30FF 00000100
	v_mfma_f32_16x16x32_fp8_fp8 v[12:15], a[172:173], a[52:53], v[12:15]// 0000000045AC: D3F3000C 1C3269AC
	v_mfma_f32_16x16x32_fp8_fp8 v[12:15], a[174:175], a[54:55], v[12:15]// 0000000045B4: D3F3000C 1C326DAE
	buffer_load_dword v51, s[20:23], 0 offen lds               // 0000000045BC: E0511000 80050033
	s_add_u32 m0, 0x200, s48                                   // 0000000045C4: 807C30FF 00000200
	v_fma_f32 v108, v8, v6, v108                               // 0000000045CC: D1CB006C 05B20D08
	v_fma_f32 v109, v9, v6, v109                               // 0000000045D4: D1CB006D 05B60D09
	v_fma_f32 v110, v10, v6, v110                              // 0000000045DC: D1CB006E 05BA0D0A
	v_fma_f32 v111, v11, v6, v111                              // 0000000045E4: D1CB006F 05BE0D0B
	v_mul_f32_dpp v4, v25, v42 row_newbcast:0 row_mask:0xf bank_mask:0xf// 0000000045EC: 0A0854FA FF015019
	v_mfma_f32_16x16x32_fp8_fp8 v[8:11], a[144:145], a[56:57], 0// 0000000045F4: D3F30008 1A027190
	v_mfma_f32_16x16x32_fp8_fp8 v[8:11], a[146:147], a[58:59], v[8:11]// 0000000045FC: D3F30008 1C227592
	buffer_load_dword v52, s[20:23], 0 offen lds               // 000000004604: E0511000 80050034
	s_add_u32 m0, 0x300, s48                                   // 00000000460C: 807C30FF 00000300
	v_mfma_f32_16x16x32_fp8_fp8 v[8:11], a[148:149], a[60:61], v[8:11]// 000000004614: D3F30008 1C227994
	v_mfma_f32_16x16x32_fp8_fp8 v[8:11], a[150:151], a[62:63], v[8:11]// 00000000461C: D3F30008 1C227D96
	buffer_load_dword v53, s[20:23], 0 offen lds               // 000000004624: E0511000 80050035
	s_add_u32 m0, 0x400, s48                                   // 00000000462C: 807C30FF 00000400
	v_fma_f32 v128, v12, v6, v128                              // 000000004634: D1CB0080 06020D0C
	v_fma_f32 v129, v13, v6, v129                              // 00000000463C: D1CB0081 06060D0D
	v_fma_f32 v130, v14, v6, v130                              // 000000004644: D1CB0082 060A0D0E
	v_fma_f32 v131, v15, v6, v131                              // 00000000464C: D1CB0083 060E0D0F
	v_mfma_f32_16x16x32_fp8_fp8 v[12:15], a[152:153], a[56:57], 0// 000000004654: D3F3000C 1A027198
	v_mfma_f32_16x16x32_fp8_fp8 v[12:15], a[154:155], a[58:59], v[12:15]// 00000000465C: D3F3000C 1C32759A
	buffer_load_dword v54, s[20:23], 0 offen lds               // 000000004664: E0511000 80050036
	s_add_u32 m0, 0x500, s48                                   // 00000000466C: 807C30FF 00000500
	v_mfma_f32_16x16x32_fp8_fp8 v[12:15], a[156:157], a[60:61], v[12:15]// 000000004674: D3F3000C 1C32799C
	v_mfma_f32_16x16x32_fp8_fp8 v[12:15], a[158:159], a[62:63], v[12:15]// 00000000467C: D3F3000C 1C327D9E
	buffer_load_dword v55, s[20:23], 0 offen lds               // 000000004684: E0511000 80050037
	s_add_u32 m0, 0x600, s48                                   // 00000000468C: 807C30FF 00000600
	v_fma_f32 v72, v8, v4, v72                                 // 000000004694: D1CB0048 05220908
	v_fma_f32 v73, v9, v4, v73                                 // 00000000469C: D1CB0049 05260909
	v_fma_f32 v74, v10, v4, v74                                // 0000000046A4: D1CB004A 052A090A
	v_fma_f32 v75, v11, v4, v75                                // 0000000046AC: D1CB004B 052E090B
	v_mul_f32_dpp v6, v25, v42 row_newbcast:1 row_mask:0xf bank_mask:0xf// 0000000046B4: 0A0C54FA FF015119
	v_mfma_f32_16x16x32_fp8_fp8 v[8:11], a[160:161], a[56:57], 0// 0000000046BC: D3F30008 1A0271A0
	v_mfma_f32_16x16x32_fp8_fp8 v[8:11], a[162:163], a[58:59], v[8:11]// 0000000046C4: D3F30008 1C2275A2
	buffer_load_dword v56, s[20:23], 0 offen lds               // 0000000046CC: E0511000 80050038
	s_add_u32 m0, 0x700, s48                                   // 0000000046D4: 807C30FF 00000700
	v_mfma_f32_16x16x32_fp8_fp8 v[8:11], a[164:165], a[60:61], v[8:11]// 0000000046DC: D3F30008 1C2279A4
	v_mfma_f32_16x16x32_fp8_fp8 v[8:11], a[166:167], a[62:63], v[8:11]// 0000000046E4: D3F30008 1C227DA6
	buffer_load_dword v57, s[20:23], 0 offen lds               // 0000000046EC: E0511000 80050039
	s_add_u32 m0, 0x800, s48                                   // 0000000046F4: 807C30FF 00000800
	v_fma_f32 v92, v12, v4, v92                                // 0000000046FC: D1CB005C 0572090C
	v_fma_f32 v93, v13, v4, v93                                // 000000004704: D1CB005D 0576090D
	v_fma_f32 v94, v14, v4, v94                                // 00000000470C: D1CB005E 057A090E
	v_fma_f32 v95, v15, v4, v95                                // 000000004714: D1CB005F 057E090F
	v_mfma_f32_16x16x32_fp8_fp8 v[12:15], a[168:169], a[56:57], 0// 00000000471C: D3F3000C 1A0271A8
	v_mfma_f32_16x16x32_fp8_fp8 v[12:15], a[170:171], a[58:59], v[12:15]// 000000004724: D3F3000C 1C3275AA
	buffer_load_dword v58, s[20:23], 0 offen lds               // 00000000472C: E0511000 8005003A
	s_add_u32 m0, 0x900, s48                                   // 000000004734: 807C30FF 00000900
	v_mfma_f32_16x16x32_fp8_fp8 v[12:15], a[172:173], a[60:61], v[12:15]// 00000000473C: D3F3000C 1C3279AC
	v_mfma_f32_16x16x32_fp8_fp8 v[12:15], a[174:175], a[62:63], v[12:15]// 000000004744: D3F3000C 1C327DAE
	buffer_load_dword v59, s[20:23], 0 offen lds               // 00000000474C: E0511000 8005003B
	s_add_u32 m0, 0, s49                                       // 000000004754: 807C3180
	v_fma_f32 v112, v8, v6, v112                               // 000000004758: D1CB0070 05C20D08
	v_fma_f32 v113, v9, v6, v113                               // 000000004760: D1CB0071 05C60D09
	v_fma_f32 v114, v10, v6, v114                              // 000000004768: D1CB0072 05CA0D0A
	v_fma_f32 v115, v11, v6, v115                              // 000000004770: D1CB0073 05CE0D0B
	v_mul_f32_dpp v4, v25, v43 row_newbcast:0 row_mask:0xf bank_mask:0xf// 000000004778: 0A0856FA FF015019
	v_mfma_f32_16x16x32_fp8_fp8 v[8:11], a[144:145], a[64:65], 0// 000000004780: D3F30008 1A028190
	v_mfma_f32_16x16x32_fp8_fp8 v[8:11], a[146:147], a[66:67], v[8:11]// 000000004788: D3F30008 1C228592
	buffer_load_dword v35, v30, s[28:31], 0 offen              // 000000004790: E0501000 8007231E
	v_mfma_f32_16x16x32_fp8_fp8 v[8:11], a[148:149], a[68:69], v[8:11]// 000000004798: D3F30008 1C228994
	v_mfma_f32_16x16x32_fp8_fp8 v[8:11], a[150:151], a[70:71], v[8:11]// 0000000047A0: D3F30008 1C228D96
	buffer_load_dword v36, v31, s[28:31], 0 offen              // 0000000047A8: E0501000 8007241F
	v_fma_f32 v132, v12, v6, v132                              // 0000000047B0: D1CB0084 06120D0C
	v_fma_f32 v133, v13, v6, v133                              // 0000000047B8: D1CB0085 06160D0D
	v_fma_f32 v134, v14, v6, v134                              // 0000000047C0: D1CB0086 061A0D0E
	v_fma_f32 v135, v15, v6, v135                              // 0000000047C8: D1CB0087 061E0D0F
	v_mfma_f32_16x16x32_fp8_fp8 v[12:15], a[152:153], a[64:65], 0// 0000000047D0: D3F3000C 1A028198
	v_mfma_f32_16x16x32_fp8_fp8 v[12:15], a[154:155], a[66:67], v[12:15]// 0000000047D8: D3F3000C 1C32859A
	buffer_load_dword v37, v32, s[28:31], 0 offen              // 0000000047E0: E0501000 80072520
	v_mfma_f32_16x16x32_fp8_fp8 v[12:15], a[156:157], a[68:69], v[12:15]// 0000000047E8: D3F3000C 1C32899C
	v_mfma_f32_16x16x32_fp8_fp8 v[12:15], a[158:159], a[70:71], v[12:15]// 0000000047F0: D3F3000C 1C328D9E
	buffer_load_dword v38, v33, s[28:31], 0 offen              // 0000000047F8: E0501000 80072621
	v_fma_f32 v76, v8, v4, v76                                 // 000000004800: D1CB004C 05320908
	v_fma_f32 v77, v9, v4, v77                                 // 000000004808: D1CB004D 05360909
	v_fma_f32 v78, v10, v4, v78                                // 000000004810: D1CB004E 053A090A
	v_fma_f32 v79, v11, v4, v79                                // 000000004818: D1CB004F 053E090B
	v_mul_f32_dpp v6, v25, v43 row_newbcast:1 row_mask:0xf bank_mask:0xf// 000000004820: 0A0C56FA FF015119
	v_mfma_f32_16x16x32_fp8_fp8 v[8:11], a[160:161], a[64:65], 0// 000000004828: D3F30008 1A0281A0
	v_mfma_f32_16x16x32_fp8_fp8 v[8:11], a[162:163], a[66:67], v[8:11]// 000000004830: D3F30008 1C2285A2
	buffer_load_dword v39, v34, s[28:31], 0 offen              // 000000004838: E0501000 80072722
	v_mfma_f32_16x16x32_fp8_fp8 v[8:11], a[164:165], a[68:69], v[8:11]// 000000004840: D3F30008 1C2289A4
	v_mfma_f32_16x16x32_fp8_fp8 v[8:11], a[166:167], a[70:71], v[8:11]// 000000004848: D3F30008 1C228DA6
	v_fma_f32 v96, v12, v4, v96                                // 000000004850: D1CB0060 0582090C
	v_fma_f32 v97, v13, v4, v97                                // 000000004858: D1CB0061 0586090D
	v_fma_f32 v98, v14, v4, v98                                // 000000004860: D1CB0062 058A090E
	v_fma_f32 v99, v15, v4, v99                                // 000000004868: D1CB0063 058E090F
	v_mfma_f32_16x16x32_fp8_fp8 v[12:15], a[168:169], a[64:65], 0// 000000004870: D3F3000C 1A0281A8
	v_mfma_f32_16x16x32_fp8_fp8 v[12:15], a[170:171], a[66:67], v[12:15]// 000000004878: D3F3000C 1C3285AA
	v_mfma_f32_16x16x32_fp8_fp8 v[12:15], a[172:173], a[68:69], v[12:15]// 000000004880: D3F3000C 1C3289AC
	v_mfma_f32_16x16x32_fp8_fp8 v[12:15], a[174:175], a[70:71], v[12:15]// 000000004888: D3F3000C 1C328DAE
	v_fma_f32 v116, v8, v6, v116                               // 000000004890: D1CB0074 05D20D08
	v_fma_f32 v117, v9, v6, v117                               // 000000004898: D1CB0075 05D60D09
	v_fma_f32 v118, v10, v6, v118                              // 0000000048A0: D1CB0076 05DA0D0A
	v_fma_f32 v119, v11, v6, v119                              // 0000000048A8: D1CB0077 05DE0D0B
	v_mul_f32_dpp v4, v25, v44 row_newbcast:0 row_mask:0xf bank_mask:0xf// 0000000048B0: 0A0858FA FF015019
	v_mfma_f32_16x16x32_fp8_fp8 v[8:11], a[144:145], a[72:73], 0// 0000000048B8: D3F30008 1A029190
	v_mfma_f32_16x16x32_fp8_fp8 v[8:11], a[146:147], a[74:75], v[8:11]// 0000000048C0: D3F30008 1C229592
	v_mfma_f32_16x16x32_fp8_fp8 v[8:11], a[148:149], a[76:77], v[8:11]// 0000000048C8: D3F30008 1C229994
	v_mfma_f32_16x16x32_fp8_fp8 v[8:11], a[150:151], a[78:79], v[8:11]// 0000000048D0: D3F30008 1C229D96
	v_fma_f32 v136, v12, v6, v136                              // 0000000048D8: D1CB0088 06220D0C
	v_fma_f32 v137, v13, v6, v137                              // 0000000048E0: D1CB0089 06260D0D
	v_fma_f32 v138, v14, v6, v138                              // 0000000048E8: D1CB008A 062A0D0E
	v_fma_f32 v139, v15, v6, v139                              // 0000000048F0: D1CB008B 062E0D0F
	v_mfma_f32_16x16x32_fp8_fp8 v[12:15], a[152:153], a[72:73], 0// 0000000048F8: D3F3000C 1A029198
	v_mfma_f32_16x16x32_fp8_fp8 v[12:15], a[154:155], a[74:75], v[12:15]// 000000004900: D3F3000C 1C32959A
	v_mfma_f32_16x16x32_fp8_fp8 v[12:15], a[156:157], a[76:77], v[12:15]// 000000004908: D3F3000C 1C32999C
	v_mfma_f32_16x16x32_fp8_fp8 v[12:15], a[158:159], a[78:79], v[12:15]// 000000004910: D3F3000C 1C329D9E
	v_fma_f32 v80, v8, v4, v80                                 // 000000004918: D1CB0050 05420908
	v_fma_f32 v81, v9, v4, v81                                 // 000000004920: D1CB0051 05460909
	v_fma_f32 v82, v10, v4, v82                                // 000000004928: D1CB0052 054A090A
	v_fma_f32 v83, v11, v4, v83                                // 000000004930: D1CB0053 054E090B
	v_mul_f32_dpp v6, v25, v44 row_newbcast:1 row_mask:0xf bank_mask:0xf// 000000004938: 0A0C58FA FF015119
	v_mfma_f32_16x16x32_fp8_fp8 v[8:11], a[160:161], a[72:73], 0// 000000004940: D3F30008 1A0291A0
	v_mfma_f32_16x16x32_fp8_fp8 v[8:11], a[162:163], a[74:75], v[8:11]// 000000004948: D3F30008 1C2295A2
	v_mfma_f32_16x16x32_fp8_fp8 v[8:11], a[164:165], a[76:77], v[8:11]// 000000004950: D3F30008 1C2299A4
	v_mfma_f32_16x16x32_fp8_fp8 v[8:11], a[166:167], a[78:79], v[8:11]// 000000004958: D3F30008 1C229DA6
	v_fma_f32 v100, v12, v4, v100                              // 000000004960: D1CB0064 0592090C
	v_fma_f32 v101, v13, v4, v101                              // 000000004968: D1CB0065 0596090D
	v_fma_f32 v102, v14, v4, v102                              // 000000004970: D1CB0066 059A090E
	v_fma_f32 v103, v15, v4, v103                              // 000000004978: D1CB0067 059E090F
	v_mfma_f32_16x16x32_fp8_fp8 v[12:15], a[168:169], a[72:73], 0// 000000004980: D3F3000C 1A0291A8
	v_mfma_f32_16x16x32_fp8_fp8 v[12:15], a[170:171], a[74:75], v[12:15]// 000000004988: D3F3000C 1C3295AA
	v_mfma_f32_16x16x32_fp8_fp8 v[12:15], a[172:173], a[76:77], v[12:15]// 000000004990: D3F3000C 1C3299AC
	v_mfma_f32_16x16x32_fp8_fp8 v[12:15], a[174:175], a[78:79], v[12:15]// 000000004998: D3F3000C 1C329DAE
	v_fma_f32 v120, v8, v6, v120                               // 0000000049A0: D1CB0078 05E20D08
	v_fma_f32 v121, v9, v6, v121                               // 0000000049A8: D1CB0079 05E60D09
	v_fma_f32 v122, v10, v6, v122                              // 0000000049B0: D1CB007A 05EA0D0A
	v_fma_f32 v123, v11, v6, v123                              // 0000000049B8: D1CB007B 05EE0D0B
	v_fma_f32 v140, v12, v6, v140                              // 0000000049C0: D1CB008C 06320D0C
	v_fma_f32 v141, v13, v6, v141                              // 0000000049C8: D1CB008D 06360D0D
	v_fma_f32 v142, v14, v6, v142                              // 0000000049D0: D1CB008E 063A0D0E
	v_fma_f32 v143, v15, v6, v143                              // 0000000049D8: D1CB008F 063E0D0F
	s_waitcnt vmcnt(24)                                        // 0000000049E0: BF8C4F78
	s_barrier                                                  // 0000000049E4: BF8A0000
	v_mul_f32_dpp v4, v28, v40 row_newbcast:0 row_mask:0xf bank_mask:0xf// 0000000049E8: 0A0850FA FF01501C
	v_mfma_f32_16x16x32_fp8_fp8 v[8:11], a[80:81], a[40:41], 0 // 0000000049F0: D3F30008 1A025150
	buffer_load_dword v29, v23, s[32:35], 0 offen              // 0000000049F8: E0501000 80081D17
	v_mfma_f32_16x16x32_fp8_fp8 v[8:11], a[82:83], a[42:43], v[8:11]// 000000004A00: D3F30008 1C225552
	buffer_load_dwordx4 a[144:147], v60, s[84:87], 0 offen     // 000000004A08: E05C1000 8095903C
	v_mfma_f32_16x16x32_fp8_fp8 v[8:11], a[84:85], a[44:45], v[8:11]// 000000004A10: D3F30008 1C225954
	v_mfma_f32_16x16x32_fp8_fp8 v[8:11], a[86:87], a[46:47], v[8:11]// 000000004A18: D3F30008 1C225D56
	ds_read_b128 a[0:3], v2 offset:20736                       // 000000004A20: DBFE5100 00000002
	ds_read_b128 a[4:7], v2 offset:20800                       // 000000004A28: DBFE5140 04000002
	v_mfma_f32_16x16x32_fp8_fp8 v[12:15], a[88:89], a[40:41], 0// 000000004A30: D3F3000C 1A025158
	v_mfma_f32_16x16x32_fp8_fp8 v[12:15], a[90:91], a[42:43], v[12:15]// 000000004A38: D3F3000C 1C32555A
	buffer_load_dwordx4 a[148:151], v60, s[84:87], 0 offen offset:1024// 000000004A40: E05C1400 8095943C
	v_mfma_f32_16x16x32_fp8_fp8 v[12:15], a[92:93], a[44:45], v[12:15]// 000000004A48: D3F3000C 1C32595C
	v_mfma_f32_16x16x32_fp8_fp8 v[12:15], a[94:95], a[46:47], v[12:15]// 000000004A50: D3F3000C 1C325D5E
	ds_read_b128 a[8:11], v2 offset:21248                      // 000000004A58: DBFE5300 08000002
	ds_read_b128 a[12:15], v2 offset:21312                     // 000000004A60: DBFE5340 0C000002
	v_fma_f32 v144, v8, v4, v144                               // 000000004A68: D1CB0090 06420908
	v_fma_f32 v145, v9, v4, v145                               // 000000004A70: D1CB0091 06460909
	v_fma_f32 v146, v10, v4, v146                              // 000000004A78: D1CB0092 064A090A
	v_fma_f32 v147, v11, v4, v147                              // 000000004A80: D1CB0093 064E090B
	v_mul_f32_dpp v6, v28, v40 row_newbcast:1 row_mask:0xf bank_mask:0xf// 000000004A88: 0A0C50FA FF01511C
	v_mfma_f32_16x16x32_fp8_fp8 v[8:11], a[96:97], a[40:41], 0 // 000000004A90: D3F30008 1A025160
	v_mfma_f32_16x16x32_fp8_fp8 v[8:11], a[98:99], a[42:43], v[8:11]// 000000004A98: D3F30008 1C225562
	buffer_load_dwordx4 a[152:155], v61, s[84:87], 0 offen     // 000000004AA0: E05C1000 8095983D
	v_mfma_f32_16x16x32_fp8_fp8 v[8:11], a[100:101], a[44:45], v[8:11]// 000000004AA8: D3F30008 1C225964
	v_mfma_f32_16x16x32_fp8_fp8 v[8:11], a[102:103], a[46:47], v[8:11]// 000000004AB0: D3F30008 1C225D66
	ds_read_b128 a[16:19], v2 offset:21760                     // 000000004AB8: DBFE5500 10000002
	ds_read_b128 a[20:23], v2 offset:21824                     // 000000004AC0: DBFE5540 14000002
	v_fma_f32 v164, v12, v4, v164                              // 000000004AC8: D1CB00A4 0692090C
	v_fma_f32 v165, v13, v4, v165                              // 000000004AD0: D1CB00A5 0696090D
	v_fma_f32 v166, v14, v4, v166                              // 000000004AD8: D1CB00A6 069A090E
	v_fma_f32 v167, v15, v4, v167                              // 000000004AE0: D1CB00A7 069E090F
	v_mfma_f32_16x16x32_fp8_fp8 v[12:15], a[104:105], a[40:41], 0// 000000004AE8: D3F3000C 1A025168
	v_mfma_f32_16x16x32_fp8_fp8 v[12:15], a[106:107], a[42:43], v[12:15]// 000000004AF0: D3F3000C 1C32556A
	buffer_load_dwordx4 a[156:159], v61, s[84:87], 0 offen offset:1024// 000000004AF8: E05C1400 80959C3D
	v_mfma_f32_16x16x32_fp8_fp8 v[12:15], a[108:109], a[44:45], v[12:15]// 000000004B00: D3F3000C 1C32596C
	v_mfma_f32_16x16x32_fp8_fp8 v[12:15], a[110:111], a[46:47], v[12:15]// 000000004B08: D3F3000C 1C325D6E
	ds_read_b128 a[24:27], v2 offset:22272                     // 000000004B10: DBFE5700 18000002
	ds_read_b128 a[28:31], v2 offset:22336                     // 000000004B18: DBFE5740 1C000002
	v_fma_f32 v184, v8, v6, v184                               // 000000004B20: D1CB00B8 06E20D08
	v_fma_f32 v185, v9, v6, v185                               // 000000004B28: D1CB00B9 06E60D09
	v_fma_f32 v186, v10, v6, v186                              // 000000004B30: D1CB00BA 06EA0D0A
	v_fma_f32 v187, v11, v6, v187                              // 000000004B38: D1CB00BB 06EE0D0B
	v_mul_f32_dpp v4, v28, v41 row_newbcast:0 row_mask:0xf bank_mask:0xf// 000000004B40: 0A0852FA FF01501C
	v_mfma_f32_16x16x32_fp8_fp8 v[8:11], a[80:81], a[48:49], 0 // 000000004B48: D3F30008 1A026150
	v_mfma_f32_16x16x32_fp8_fp8 v[8:11], a[82:83], a[50:51], v[8:11]// 000000004B50: D3F30008 1C226552
	buffer_load_dwordx4 a[160:163], v62, s[84:87], 0 offen     // 000000004B58: E05C1000 8095A03E
	v_mfma_f32_16x16x32_fp8_fp8 v[8:11], a[84:85], a[52:53], v[8:11]// 000000004B60: D3F30008 1C226954
	v_mfma_f32_16x16x32_fp8_fp8 v[8:11], a[86:87], a[54:55], v[8:11]// 000000004B68: D3F30008 1C226D56
	ds_read_b128 a[32:35], v2 offset:22784                     // 000000004B70: DBFE5900 20000002
	ds_read_b128 a[36:39], v2 offset:22848                     // 000000004B78: DBFE5940 24000002
	v_fma_f32 v204, v12, v6, v204                              // 000000004B80: D1CB00CC 07320D0C
	v_fma_f32 v205, v13, v6, v205                              // 000000004B88: D1CB00CD 07360D0D
	v_fma_f32 v206, v14, v6, v206                              // 000000004B90: D1CB00CE 073A0D0E
	v_fma_f32 v207, v15, v6, v207                              // 000000004B98: D1CB00CF 073E0D0F
	v_mfma_f32_16x16x32_fp8_fp8 v[12:15], a[88:89], a[48:49], 0// 000000004BA0: D3F3000C 1A026158
	v_mfma_f32_16x16x32_fp8_fp8 v[12:15], a[90:91], a[50:51], v[12:15]// 000000004BA8: D3F3000C 1C32655A
	buffer_load_dwordx4 a[164:167], v62, s[84:87], 0 offen offset:1024// 000000004BB0: E05C1400 8095A43E
	v_mfma_f32_16x16x32_fp8_fp8 v[12:15], a[92:93], a[52:53], v[12:15]// 000000004BB8: D3F3000C 1C32695C
	v_mfma_f32_16x16x32_fp8_fp8 v[12:15], a[94:95], a[54:55], v[12:15]// 000000004BC0: D3F3000C 1C326D5E
	v_fma_f32 v148, v8, v4, v148                               // 000000004BC8: D1CB0094 06520908
	v_fma_f32 v149, v9, v4, v149                               // 000000004BD0: D1CB0095 06560909
	v_fma_f32 v150, v10, v4, v150                              // 000000004BD8: D1CB0096 065A090A
	v_fma_f32 v151, v11, v4, v151                              // 000000004BE0: D1CB0097 065E090B
	v_mul_f32_dpp v6, v28, v41 row_newbcast:1 row_mask:0xf bank_mask:0xf// 000000004BE8: 0A0C52FA FF01511C
	v_mfma_f32_16x16x32_fp8_fp8 v[8:11], a[96:97], a[48:49], 0 // 000000004BF0: D3F30008 1A026160
	v_mfma_f32_16x16x32_fp8_fp8 v[8:11], a[98:99], a[50:51], v[8:11]// 000000004BF8: D3F30008 1C226562
	buffer_load_dwordx4 a[168:171], v63, s[84:87], 0 offen     // 000000004C00: E05C1000 8095A83F
	v_mfma_f32_16x16x32_fp8_fp8 v[8:11], a[100:101], a[52:53], v[8:11]// 000000004C08: D3F30008 1C226964
	v_mfma_f32_16x16x32_fp8_fp8 v[8:11], a[102:103], a[54:55], v[8:11]// 000000004C10: D3F30008 1C226D66
	v_fma_f32 v168, v12, v4, v168                              // 000000004C18: D1CB00A8 06A2090C
	v_fma_f32 v169, v13, v4, v169                              // 000000004C20: D1CB00A9 06A6090D
	v_fma_f32 v170, v14, v4, v170                              // 000000004C28: D1CB00AA 06AA090E
	v_fma_f32 v171, v15, v4, v171                              // 000000004C30: D1CB00AB 06AE090F
	v_mfma_f32_16x16x32_fp8_fp8 v[12:15], a[104:105], a[48:49], 0// 000000004C38: D3F3000C 1A026168
	v_mfma_f32_16x16x32_fp8_fp8 v[12:15], a[106:107], a[50:51], v[12:15]// 000000004C40: D3F3000C 1C32656A
	buffer_load_dwordx4 a[172:175], v63, s[84:87], 0 offen offset:1024// 000000004C48: E05C1400 8095AC3F
	v_mfma_f32_16x16x32_fp8_fp8 v[12:15], a[108:109], a[52:53], v[12:15]// 000000004C50: D3F3000C 1C32696C
	v_mfma_f32_16x16x32_fp8_fp8 v[12:15], a[110:111], a[54:55], v[12:15]// 000000004C58: D3F3000C 1C326D6E
	v_fma_f32 v188, v8, v6, v188                               // 000000004C60: D1CB00BC 06F20D08
	v_fma_f32 v189, v9, v6, v189                               // 000000004C68: D1CB00BD 06F60D09
	v_fma_f32 v190, v10, v6, v190                              // 000000004C70: D1CB00BE 06FA0D0A
	v_fma_f32 v191, v11, v6, v191                              // 000000004C78: D1CB00BF 06FE0D0B
	v_mul_f32_dpp v4, v28, v42 row_newbcast:0 row_mask:0xf bank_mask:0xf// 000000004C80: 0A0854FA FF01501C
	v_mfma_f32_16x16x32_fp8_fp8 v[8:11], a[80:81], a[56:57], 0 // 000000004C88: D3F30008 1A027150
	v_mfma_f32_16x16x32_fp8_fp8 v[8:11], a[82:83], a[58:59], v[8:11]// 000000004C90: D3F30008 1C227552
	v_mfma_f32_16x16x32_fp8_fp8 v[8:11], a[84:85], a[60:61], v[8:11]// 000000004C98: D3F30008 1C227954
	v_mfma_f32_16x16x32_fp8_fp8 v[8:11], a[86:87], a[62:63], v[8:11]// 000000004CA0: D3F30008 1C227D56
	v_fma_f32 v208, v12, v6, v208                              // 000000004CA8: D1CB00D0 07420D0C
	v_fma_f32 v209, v13, v6, v209                              // 000000004CB0: D1CB00D1 07460D0D
	v_fma_f32 v210, v14, v6, v210                              // 000000004CB8: D1CB00D2 074A0D0E
	v_fma_f32 v211, v15, v6, v211                              // 000000004CC0: D1CB00D3 074E0D0F
	v_mfma_f32_16x16x32_fp8_fp8 v[12:15], a[88:89], a[56:57], 0// 000000004CC8: D3F3000C 1A027158
	v_mfma_f32_16x16x32_fp8_fp8 v[12:15], a[90:91], a[58:59], v[12:15]// 000000004CD0: D3F3000C 1C32755A
	v_mfma_f32_16x16x32_fp8_fp8 v[12:15], a[92:93], a[60:61], v[12:15]// 000000004CD8: D3F3000C 1C32795C
	v_mfma_f32_16x16x32_fp8_fp8 v[12:15], a[94:95], a[62:63], v[12:15]// 000000004CE0: D3F3000C 1C327D5E
	v_fma_f32 v152, v8, v4, v152                               // 000000004CE8: D1CB0098 06620908
	v_fma_f32 v153, v9, v4, v153                               // 000000004CF0: D1CB0099 06660909
	v_fma_f32 v154, v10, v4, v154                              // 000000004CF8: D1CB009A 066A090A
	v_fma_f32 v155, v11, v4, v155                              // 000000004D00: D1CB009B 066E090B
	v_mul_f32_dpp v6, v28, v42 row_newbcast:1 row_mask:0xf bank_mask:0xf// 000000004D08: 0A0C54FA FF01511C
	v_mfma_f32_16x16x32_fp8_fp8 v[8:11], a[96:97], a[56:57], 0 // 000000004D10: D3F30008 1A027160
	v_mfma_f32_16x16x32_fp8_fp8 v[8:11], a[98:99], a[58:59], v[8:11]// 000000004D18: D3F30008 1C227562
	v_mfma_f32_16x16x32_fp8_fp8 v[8:11], a[100:101], a[60:61], v[8:11]// 000000004D20: D3F30008 1C227964
	v_mfma_f32_16x16x32_fp8_fp8 v[8:11], a[102:103], a[62:63], v[8:11]// 000000004D28: D3F30008 1C227D66
	v_fma_f32 v172, v12, v4, v172                              // 000000004D30: D1CB00AC 06B2090C
	v_fma_f32 v173, v13, v4, v173                              // 000000004D38: D1CB00AD 06B6090D
	v_fma_f32 v174, v14, v4, v174                              // 000000004D40: D1CB00AE 06BA090E
	v_fma_f32 v175, v15, v4, v175                              // 000000004D48: D1CB00AF 06BE090F
	v_mfma_f32_16x16x32_fp8_fp8 v[12:15], a[104:105], a[56:57], 0// 000000004D50: D3F3000C 1A027168
	v_mfma_f32_16x16x32_fp8_fp8 v[12:15], a[106:107], a[58:59], v[12:15]// 000000004D58: D3F3000C 1C32756A
	v_mfma_f32_16x16x32_fp8_fp8 v[12:15], a[108:109], a[60:61], v[12:15]// 000000004D60: D3F3000C 1C32796C
	v_mfma_f32_16x16x32_fp8_fp8 v[12:15], a[110:111], a[62:63], v[12:15]// 000000004D68: D3F3000C 1C327D6E
	v_fma_f32 v192, v8, v6, v192                               // 000000004D70: D1CB00C0 07020D08
	v_fma_f32 v193, v9, v6, v193                               // 000000004D78: D1CB00C1 07060D09
	v_fma_f32 v194, v10, v6, v194                              // 000000004D80: D1CB00C2 070A0D0A
	v_fma_f32 v195, v11, v6, v195                              // 000000004D88: D1CB00C3 070E0D0B
	v_mul_f32_dpp v4, v28, v43 row_newbcast:0 row_mask:0xf bank_mask:0xf// 000000004D90: 0A0856FA FF01501C
	v_mfma_f32_16x16x32_fp8_fp8 v[8:11], a[80:81], a[64:65], 0 // 000000004D98: D3F30008 1A028150
	v_mfma_f32_16x16x32_fp8_fp8 v[8:11], a[82:83], a[66:67], v[8:11]// 000000004DA0: D3F30008 1C228552
	v_mfma_f32_16x16x32_fp8_fp8 v[8:11], a[84:85], a[68:69], v[8:11]// 000000004DA8: D3F30008 1C228954
	v_mfma_f32_16x16x32_fp8_fp8 v[8:11], a[86:87], a[70:71], v[8:11]// 000000004DB0: D3F30008 1C228D56
	v_fma_f32 v212, v12, v6, v212                              // 000000004DB8: D1CB00D4 07520D0C
	v_fma_f32 v213, v13, v6, v213                              // 000000004DC0: D1CB00D5 07560D0D
	v_fma_f32 v214, v14, v6, v214                              // 000000004DC8: D1CB00D6 075A0D0E
	v_fma_f32 v215, v15, v6, v215                              // 000000004DD0: D1CB00D7 075E0D0F
	v_mfma_f32_16x16x32_fp8_fp8 v[12:15], a[88:89], a[64:65], 0// 000000004DD8: D3F3000C 1A028158
	v_mfma_f32_16x16x32_fp8_fp8 v[12:15], a[90:91], a[66:67], v[12:15]// 000000004DE0: D3F3000C 1C32855A
	v_mfma_f32_16x16x32_fp8_fp8 v[12:15], a[92:93], a[68:69], v[12:15]// 000000004DE8: D3F3000C 1C32895C
	v_mfma_f32_16x16x32_fp8_fp8 v[12:15], a[94:95], a[70:71], v[12:15]// 000000004DF0: D3F3000C 1C328D5E
	v_fma_f32 v156, v8, v4, v156                               // 000000004DF8: D1CB009C 06720908
	v_fma_f32 v157, v9, v4, v157                               // 000000004E00: D1CB009D 06760909
	v_fma_f32 v158, v10, v4, v158                              // 000000004E08: D1CB009E 067A090A
	v_fma_f32 v159, v11, v4, v159                              // 000000004E10: D1CB009F 067E090B
	v_mul_f32_dpp v6, v28, v43 row_newbcast:1 row_mask:0xf bank_mask:0xf// 000000004E18: 0A0C56FA FF01511C
	v_mfma_f32_16x16x32_fp8_fp8 v[8:11], a[96:97], a[64:65], 0 // 000000004E20: D3F30008 1A028160
	v_mfma_f32_16x16x32_fp8_fp8 v[8:11], a[98:99], a[66:67], v[8:11]// 000000004E28: D3F30008 1C228562
	v_mfma_f32_16x16x32_fp8_fp8 v[8:11], a[100:101], a[68:69], v[8:11]// 000000004E30: D3F30008 1C228964
	v_mfma_f32_16x16x32_fp8_fp8 v[8:11], a[102:103], a[70:71], v[8:11]// 000000004E38: D3F30008 1C228D66
	v_fma_f32 v176, v12, v4, v176                              // 000000004E40: D1CB00B0 06C2090C
	v_fma_f32 v177, v13, v4, v177                              // 000000004E48: D1CB00B1 06C6090D
	v_fma_f32 v178, v14, v4, v178                              // 000000004E50: D1CB00B2 06CA090E
	v_fma_f32 v179, v15, v4, v179                              // 000000004E58: D1CB00B3 06CE090F
	v_mfma_f32_16x16x32_fp8_fp8 v[12:15], a[104:105], a[64:65], 0// 000000004E60: D3F3000C 1A028168
	v_mfma_f32_16x16x32_fp8_fp8 v[12:15], a[106:107], a[66:67], v[12:15]// 000000004E68: D3F3000C 1C32856A
	v_mfma_f32_16x16x32_fp8_fp8 v[12:15], a[108:109], a[68:69], v[12:15]// 000000004E70: D3F3000C 1C32896C
	v_mfma_f32_16x16x32_fp8_fp8 v[12:15], a[110:111], a[70:71], v[12:15]// 000000004E78: D3F3000C 1C328D6E
	v_fma_f32 v196, v8, v6, v196                               // 000000004E80: D1CB00C4 07120D08
	v_fma_f32 v197, v9, v6, v197                               // 000000004E88: D1CB00C5 07160D09
	v_fma_f32 v198, v10, v6, v198                              // 000000004E90: D1CB00C6 071A0D0A
	v_fma_f32 v199, v11, v6, v199                              // 000000004E98: D1CB00C7 071E0D0B
	v_mul_f32_dpp v4, v28, v44 row_newbcast:0 row_mask:0xf bank_mask:0xf// 000000004EA0: 0A0858FA FF01501C
	v_mfma_f32_16x16x32_fp8_fp8 v[8:11], a[80:81], a[72:73], 0 // 000000004EA8: D3F30008 1A029150
	v_mfma_f32_16x16x32_fp8_fp8 v[8:11], a[82:83], a[74:75], v[8:11]// 000000004EB0: D3F30008 1C229552
	v_mfma_f32_16x16x32_fp8_fp8 v[8:11], a[84:85], a[76:77], v[8:11]// 000000004EB8: D3F30008 1C229954
	v_mfma_f32_16x16x32_fp8_fp8 v[8:11], a[86:87], a[78:79], v[8:11]// 000000004EC0: D3F30008 1C229D56
	v_fma_f32 v216, v12, v6, v216                              // 000000004EC8: D1CB00D8 07620D0C
	v_fma_f32 v217, v13, v6, v217                              // 000000004ED0: D1CB00D9 07660D0D
	v_fma_f32 v218, v14, v6, v218                              // 000000004ED8: D1CB00DA 076A0D0E
	v_fma_f32 v219, v15, v6, v219                              // 000000004EE0: D1CB00DB 076E0D0F
	v_mfma_f32_16x16x32_fp8_fp8 v[12:15], a[88:89], a[72:73], 0// 000000004EE8: D3F3000C 1A029158
	v_mfma_f32_16x16x32_fp8_fp8 v[12:15], a[90:91], a[74:75], v[12:15]// 000000004EF0: D3F3000C 1C32955A
	v_mfma_f32_16x16x32_fp8_fp8 v[12:15], a[92:93], a[76:77], v[12:15]// 000000004EF8: D3F3000C 1C32995C
	v_mfma_f32_16x16x32_fp8_fp8 v[12:15], a[94:95], a[78:79], v[12:15]// 000000004F00: D3F3000C 1C329D5E
	v_fma_f32 v160, v8, v4, v160                               // 000000004F08: D1CB00A0 06820908
	v_fma_f32 v161, v9, v4, v161                               // 000000004F10: D1CB00A1 06860909
	v_fma_f32 v162, v10, v4, v162                              // 000000004F18: D1CB00A2 068A090A
	v_fma_f32 v163, v11, v4, v163                              // 000000004F20: D1CB00A3 068E090B
	v_mul_f32_dpp v6, v28, v44 row_newbcast:1 row_mask:0xf bank_mask:0xf// 000000004F28: 0A0C58FA FF01511C
	v_mfma_f32_16x16x32_fp8_fp8 v[8:11], a[96:97], a[72:73], 0 // 000000004F30: D3F30008 1A029160
	s_add_u32 s60, 0x180, s80                                  // 000000004F38: 803C50FF 00000180
	s_cmp_lt_u32 s60, s81                                      // 000000004F40: BF0A513C
	s_cselect_b32 s57, s57, 0                                  // 000000004F44: 85398039
	s_cselect_b32 s3, s3, 0                                    // 000000004F48: 85038003
	v_mfma_f32_16x16x32_fp8_fp8 v[8:11], a[98:99], a[74:75], v[8:11]// 000000004F4C: D3F30008 1C229562
	s_add_u32 s60, 0x100, s80                                  // 000000004F54: 803C50FF 00000100
	s_cmp_lt_u32 s60, s81                                      // 000000004F5C: BF0A513C
	s_cselect_b32 s58, s58, 0                                  // 000000004F60: 853A803A
	v_mfma_f32_16x16x32_fp8_fp8 v[8:11], a[100:101], a[76:77], v[8:11]// 000000004F64: D3F30008 1C229964
	s_add_u32 s60, 0x100, s80                                  // 000000004F6C: 803C50FF 00000100
	s_cmp_lt_u32 s60, s81                                      // 000000004F74: BF0A513C
	s_cselect_b32 s83, s83, 0                                  // 000000004F78: 85538053
	s_cselect_b32 s4, s4, 0                                    // 000000004F7C: 85048004
	v_mfma_f32_16x16x32_fp8_fp8 v[8:11], a[102:103], a[78:79], v[8:11]// 000000004F80: D3F30008 1C229D66
	s_add_u32 s24, s58, s24                                    // 000000004F88: 8018183A
	s_addc_u32 s25, 0, s25                                     // 000000004F8C: 82191980
	v_fma_f32 v180, v12, v4, v180                              // 000000004F90: D1CB00B4 06D2090C
	v_fma_f32 v181, v13, v4, v181                              // 000000004F98: D1CB00B5 06D6090D
	v_fma_f32 v182, v14, v4, v182                              // 000000004FA0: D1CB00B6 06DA090E
	v_fma_f32 v183, v15, v4, v183                              // 000000004FA8: D1CB00B7 06DE090F
	v_mfma_f32_16x16x32_fp8_fp8 v[12:15], a[104:105], a[72:73], 0// 000000004FB0: D3F3000C 1A029168
	s_add_u32 s20, s57, s20                                    // 000000004FB8: 80141439
	s_addc_u32 s21, 0, s21                                     // 000000004FBC: 82151580
	s_add_u32 s28, s3, s28                                     // 000000004FC0: 801C1C03
	s_addc_u32 s29, 0, s29                                     // 000000004FC4: 821D1D80
	v_mfma_f32_16x16x32_fp8_fp8 v[12:15], a[106:107], a[74:75], v[12:15]// 000000004FC8: D3F3000C 1C32956A
	s_add_u32 s84, s83, s84                                    // 000000004FD0: 80545453
	s_addc_u32 s85, 0, s85                                     // 000000004FD4: 82555580
	v_mfma_f32_16x16x32_fp8_fp8 v[12:15], a[108:109], a[76:77], v[12:15]// 000000004FD8: D3F3000C 1C32996C
	s_add_u32 s32, s4, s32                                     // 000000004FE0: 80202004
	s_addc_u32 s33, 0, s33                                     // 000000004FE4: 82212180
	v_mfma_f32_16x16x32_fp8_fp8 v[12:15], a[110:111], a[78:79], v[12:15]// 000000004FE8: D3F3000C 1C329D6E
	v_fma_f32 v200, v8, v6, v200                               // 000000004FF0: D1CB00C8 07220D08
	v_fma_f32 v201, v9, v6, v201                               // 000000004FF8: D1CB00C9 07260D09
	v_fma_f32 v202, v10, v6, v202                              // 000000005000: D1CB00CA 072A0D0A
	v_fma_f32 v203, v11, v6, v203                              // 000000005008: D1CB00CB 072E0D0B
	v_fma_f32 v220, v12, v6, v220                              // 000000005010: D1CB00DC 07720D0C
	v_fma_f32 v221, v13, v6, v221                              // 000000005018: D1CB00DD 07760D0D
	v_fma_f32 v222, v14, v6, v222                              // 000000005020: D1CB00DE 077A0D0E
	v_fma_f32 v223, v15, v6, v223                              // 000000005028: D1CB00DF 077E0D0F
	s_addk_i32 s80, 0x80                                       // 000000005030: B7500080
	s_cmp_lt_i32 s80, s81                                      // 000000005034: BF045150
	s_cbranch_scc0 label_164C                                  // 000000005038: BF840CBD
	s_waitcnt vmcnt(24) lgkmcnt(0)                             // 00000000503C: BF8C4078
	v_mul_f32_dpp v4, v26, v45 row_newbcast:0 row_mask:0xf bank_mask:0xf// 000000005040: 0A085AFA FF01501A
	v_mfma_f32_16x16x32_fp8_fp8 v[8:11], a[112:113], a[0:1], 0 // 000000005048: D3F30008 1A020170
	buffer_load_dword v24, v22, s[32:35], 0 offen              // 000000005050: E0501000 80081816
	v_mfma_f32_16x16x32_fp8_fp8 v[8:11], a[114:115], a[2:3], v[8:11]// 000000005058: D3F30008 1C220572
	buffer_load_dwordx4 a[80:83], v60, s[24:27], 0 offen       // 000000005060: E05C1000 8086503C
	v_mfma_f32_16x16x32_fp8_fp8 v[8:11], a[116:117], a[4:5], v[8:11]// 000000005068: D3F30008 1C220974
	v_mfma_f32_16x16x32_fp8_fp8 v[8:11], a[118:119], a[6:7], v[8:11]// 000000005070: D3F30008 1C220D76
	v_mfma_f32_16x16x32_fp8_fp8 v[12:15], a[120:121], a[0:1], 0// 000000005078: D3F3000C 1A020178
	v_mfma_f32_16x16x32_fp8_fp8 v[12:15], a[122:123], a[2:3], v[12:15]// 000000005080: D3F3000C 1C32057A
	buffer_load_dwordx4 a[84:87], v60, s[24:27], 0 offen offset:1024// 000000005088: E05C1400 8086543C
	v_mfma_f32_16x16x32_fp8_fp8 v[12:15], a[124:125], a[4:5], v[12:15]// 000000005090: D3F3000C 1C32097C
	v_mfma_f32_16x16x32_fp8_fp8 v[12:15], a[126:127], a[6:7], v[12:15]// 000000005098: D3F3000C 1C320D7E
	v_fma_f32 v64, v8, v4, v64                                 // 0000000050A0: D1CB0040 05020908
	v_fma_f32 v65, v9, v4, v65                                 // 0000000050A8: D1CB0041 05060909
	v_fma_f32 v66, v10, v4, v66                                // 0000000050B0: D1CB0042 050A090A
	v_fma_f32 v67, v11, v4, v67                                // 0000000050B8: D1CB0043 050E090B
	v_mul_f32_dpp v6, v26, v45 row_newbcast:1 row_mask:0xf bank_mask:0xf// 0000000050C0: 0A0C5AFA FF01511A
	v_mfma_f32_16x16x32_fp8_fp8 v[8:11], a[128:129], a[0:1], 0 // 0000000050C8: D3F30008 1A020180
	v_mfma_f32_16x16x32_fp8_fp8 v[8:11], a[130:131], a[2:3], v[8:11]// 0000000050D0: D3F30008 1C220582
	buffer_load_dwordx4 a[88:91], v61, s[24:27], 0 offen       // 0000000050D8: E05C1000 8086583D
	v_mfma_f32_16x16x32_fp8_fp8 v[8:11], a[132:133], a[4:5], v[8:11]// 0000000050E0: D3F30008 1C220984
	v_mfma_f32_16x16x32_fp8_fp8 v[8:11], a[134:135], a[6:7], v[8:11]// 0000000050E8: D3F30008 1C220D86
	v_fma_f32 v84, v12, v4, v84                                // 0000000050F0: D1CB0054 0552090C
	v_fma_f32 v85, v13, v4, v85                                // 0000000050F8: D1CB0055 0556090D
	v_fma_f32 v86, v14, v4, v86                                // 000000005100: D1CB0056 055A090E
	v_fma_f32 v87, v15, v4, v87                                // 000000005108: D1CB0057 055E090F
	v_mfma_f32_16x16x32_fp8_fp8 v[12:15], a[136:137], a[0:1], 0// 000000005110: D3F3000C 1A020188
	v_mfma_f32_16x16x32_fp8_fp8 v[12:15], a[138:139], a[2:3], v[12:15]// 000000005118: D3F3000C 1C32058A
	buffer_load_dwordx4 a[92:95], v61, s[24:27], 0 offen offset:1024// 000000005120: E05C1400 80865C3D
	v_mfma_f32_16x16x32_fp8_fp8 v[12:15], a[140:141], a[4:5], v[12:15]// 000000005128: D3F3000C 1C32098C
	v_mfma_f32_16x16x32_fp8_fp8 v[12:15], a[142:143], a[6:7], v[12:15]// 000000005130: D3F3000C 1C320D8E
	v_fma_f32 v104, v8, v6, v104                               // 000000005138: D1CB0068 05A20D08
	v_fma_f32 v105, v9, v6, v105                               // 000000005140: D1CB0069 05A60D09
	v_fma_f32 v106, v10, v6, v106                              // 000000005148: D1CB006A 05AA0D0A
	v_fma_f32 v107, v11, v6, v107                              // 000000005150: D1CB006B 05AE0D0B
	v_mul_f32_dpp v4, v26, v46 row_newbcast:0 row_mask:0xf bank_mask:0xf// 000000005158: 0A085CFA FF01501A
	v_mfma_f32_16x16x32_fp8_fp8 v[8:11], a[112:113], a[8:9], 0 // 000000005160: D3F30008 1A021170
	v_mfma_f32_16x16x32_fp8_fp8 v[8:11], a[114:115], a[10:11], v[8:11]// 000000005168: D3F30008 1C221572
	buffer_load_dwordx4 a[96:99], v62, s[24:27], 0 offen       // 000000005170: E05C1000 8086603E
	v_mfma_f32_16x16x32_fp8_fp8 v[8:11], a[116:117], a[12:13], v[8:11]// 000000005178: D3F30008 1C221974
	v_mfma_f32_16x16x32_fp8_fp8 v[8:11], a[118:119], a[14:15], v[8:11]// 000000005180: D3F30008 1C221D76
	v_fma_f32 v124, v12, v6, v124                              // 000000005188: D1CB007C 05F20D0C
	v_fma_f32 v125, v13, v6, v125                              // 000000005190: D1CB007D 05F60D0D
	v_fma_f32 v126, v14, v6, v126                              // 000000005198: D1CB007E 05FA0D0E
	v_fma_f32 v127, v15, v6, v127                              // 0000000051A0: D1CB007F 05FE0D0F
	v_mfma_f32_16x16x32_fp8_fp8 v[12:15], a[120:121], a[8:9], 0// 0000000051A8: D3F3000C 1A021178
	v_mfma_f32_16x16x32_fp8_fp8 v[12:15], a[122:123], a[10:11], v[12:15]// 0000000051B0: D3F3000C 1C32157A
	buffer_load_dwordx4 a[100:103], v62, s[24:27], 0 offen offset:1024// 0000000051B8: E05C1400 8086643E
	v_mfma_f32_16x16x32_fp8_fp8 v[12:15], a[124:125], a[12:13], v[12:15]// 0000000051C0: D3F3000C 1C32197C
	v_mfma_f32_16x16x32_fp8_fp8 v[12:15], a[126:127], a[14:15], v[12:15]// 0000000051C8: D3F3000C 1C321D7E
	v_fma_f32 v68, v8, v4, v68                                 // 0000000051D0: D1CB0044 05120908
	v_fma_f32 v69, v9, v4, v69                                 // 0000000051D8: D1CB0045 05160909
	v_fma_f32 v70, v10, v4, v70                                // 0000000051E0: D1CB0046 051A090A
	v_fma_f32 v71, v11, v4, v71                                // 0000000051E8: D1CB0047 051E090B
	v_mul_f32_dpp v6, v26, v46 row_newbcast:1 row_mask:0xf bank_mask:0xf// 0000000051F0: 0A0C5CFA FF01511A
	v_mfma_f32_16x16x32_fp8_fp8 v[8:11], a[128:129], a[8:9], 0 // 0000000051F8: D3F30008 1A021180
	v_mfma_f32_16x16x32_fp8_fp8 v[8:11], a[130:131], a[10:11], v[8:11]// 000000005200: D3F30008 1C221582
	buffer_load_dwordx4 a[104:107], v63, s[24:27], 0 offen     // 000000005208: E05C1000 8086683F
	v_mfma_f32_16x16x32_fp8_fp8 v[8:11], a[132:133], a[12:13], v[8:11]// 000000005210: D3F30008 1C221984
	v_mfma_f32_16x16x32_fp8_fp8 v[8:11], a[134:135], a[14:15], v[8:11]// 000000005218: D3F30008 1C221D86
	v_fma_f32 v88, v12, v4, v88                                // 000000005220: D1CB0058 0562090C
	v_fma_f32 v89, v13, v4, v89                                // 000000005228: D1CB0059 0566090D
	v_fma_f32 v90, v14, v4, v90                                // 000000005230: D1CB005A 056A090E
	v_fma_f32 v91, v15, v4, v91                                // 000000005238: D1CB005B 056E090F
	v_mfma_f32_16x16x32_fp8_fp8 v[12:15], a[136:137], a[8:9], 0// 000000005240: D3F3000C 1A021188
	v_mfma_f32_16x16x32_fp8_fp8 v[12:15], a[138:139], a[10:11], v[12:15]// 000000005248: D3F3000C 1C32158A
	buffer_load_dwordx4 a[108:111], v63, s[24:27], 0 offen offset:1024// 000000005250: E05C1400 80866C3F
	buffer_load_dword v50, s[20:23], 0 offen lds               // 000000005258: E0511000 80050032
	s_add_u32 m0, 0x100, s49                                   // 000000005260: 807C31FF 00000100
	v_mfma_f32_16x16x32_fp8_fp8 v[12:15], a[140:141], a[12:13], v[12:15]// 000000005268: D3F3000C 1C32198C
	v_mfma_f32_16x16x32_fp8_fp8 v[12:15], a[142:143], a[14:15], v[12:15]// 000000005270: D3F3000C 1C321D8E
	buffer_load_dword v51, s[20:23], 0 offen lds               // 000000005278: E0511000 80050033
	s_add_u32 m0, 0x200, s49                                   // 000000005280: 807C31FF 00000200
	v_fma_f32 v108, v8, v6, v108                               // 000000005288: D1CB006C 05B20D08
	v_fma_f32 v109, v9, v6, v109                               // 000000005290: D1CB006D 05B60D09
	v_fma_f32 v110, v10, v6, v110                              // 000000005298: D1CB006E 05BA0D0A
	v_fma_f32 v111, v11, v6, v111                              // 0000000052A0: D1CB006F 05BE0D0B
	v_mul_f32_dpp v4, v26, v47 row_newbcast:0 row_mask:0xf bank_mask:0xf// 0000000052A8: 0A085EFA FF01501A
	v_mfma_f32_16x16x32_fp8_fp8 v[8:11], a[112:113], a[16:17], 0// 0000000052B0: D3F30008 1A022170
	v_mfma_f32_16x16x32_fp8_fp8 v[8:11], a[114:115], a[18:19], v[8:11]// 0000000052B8: D3F30008 1C222572
	buffer_load_dword v52, s[20:23], 0 offen lds               // 0000000052C0: E0511000 80050034
	s_add_u32 m0, 0x300, s49                                   // 0000000052C8: 807C31FF 00000300
	v_mfma_f32_16x16x32_fp8_fp8 v[8:11], a[116:117], a[20:21], v[8:11]// 0000000052D0: D3F30008 1C222974
	v_mfma_f32_16x16x32_fp8_fp8 v[8:11], a[118:119], a[22:23], v[8:11]// 0000000052D8: D3F30008 1C222D76
	buffer_load_dword v53, s[20:23], 0 offen lds               // 0000000052E0: E0511000 80050035
	s_add_u32 m0, 0x400, s49                                   // 0000000052E8: 807C31FF 00000400
	v_fma_f32 v128, v12, v6, v128                              // 0000000052F0: D1CB0080 06020D0C
	v_fma_f32 v129, v13, v6, v129                              // 0000000052F8: D1CB0081 06060D0D
	v_fma_f32 v130, v14, v6, v130                              // 000000005300: D1CB0082 060A0D0E
	v_fma_f32 v131, v15, v6, v131                              // 000000005308: D1CB0083 060E0D0F
	v_mfma_f32_16x16x32_fp8_fp8 v[12:15], a[120:121], a[16:17], 0// 000000005310: D3F3000C 1A022178
	v_mfma_f32_16x16x32_fp8_fp8 v[12:15], a[122:123], a[18:19], v[12:15]// 000000005318: D3F3000C 1C32257A
	buffer_load_dword v54, s[20:23], 0 offen lds               // 000000005320: E0511000 80050036
	s_add_u32 m0, 0x500, s49                                   // 000000005328: 807C31FF 00000500
	v_mfma_f32_16x16x32_fp8_fp8 v[12:15], a[124:125], a[20:21], v[12:15]// 000000005330: D3F3000C 1C32297C
	v_mfma_f32_16x16x32_fp8_fp8 v[12:15], a[126:127], a[22:23], v[12:15]// 000000005338: D3F3000C 1C322D7E
	buffer_load_dword v55, s[20:23], 0 offen lds               // 000000005340: E0511000 80050037
	s_add_u32 m0, 0x600, s49                                   // 000000005348: 807C31FF 00000600
	v_fma_f32 v72, v8, v4, v72                                 // 000000005350: D1CB0048 05220908
	v_fma_f32 v73, v9, v4, v73                                 // 000000005358: D1CB0049 05260909
	v_fma_f32 v74, v10, v4, v74                                // 000000005360: D1CB004A 052A090A
	v_fma_f32 v75, v11, v4, v75                                // 000000005368: D1CB004B 052E090B
	v_mul_f32_dpp v6, v26, v47 row_newbcast:1 row_mask:0xf bank_mask:0xf// 000000005370: 0A0C5EFA FF01511A
	v_mfma_f32_16x16x32_fp8_fp8 v[8:11], a[128:129], a[16:17], 0// 000000005378: D3F30008 1A022180
	v_mfma_f32_16x16x32_fp8_fp8 v[8:11], a[130:131], a[18:19], v[8:11]// 000000005380: D3F30008 1C222582
	buffer_load_dword v56, s[20:23], 0 offen lds               // 000000005388: E0511000 80050038
	s_add_u32 m0, 0x700, s49                                   // 000000005390: 807C31FF 00000700
	v_mfma_f32_16x16x32_fp8_fp8 v[8:11], a[132:133], a[20:21], v[8:11]// 000000005398: D3F30008 1C222984
	v_mfma_f32_16x16x32_fp8_fp8 v[8:11], a[134:135], a[22:23], v[8:11]// 0000000053A0: D3F30008 1C222D86
	buffer_load_dword v57, s[20:23], 0 offen lds               // 0000000053A8: E0511000 80050039
	s_add_u32 m0, 0x800, s49                                   // 0000000053B0: 807C31FF 00000800
	v_fma_f32 v92, v12, v4, v92                                // 0000000053B8: D1CB005C 0572090C
	v_fma_f32 v93, v13, v4, v93                                // 0000000053C0: D1CB005D 0576090D
	v_fma_f32 v94, v14, v4, v94                                // 0000000053C8: D1CB005E 057A090E
	v_fma_f32 v95, v15, v4, v95                                // 0000000053D0: D1CB005F 057E090F
	v_mfma_f32_16x16x32_fp8_fp8 v[12:15], a[136:137], a[16:17], 0// 0000000053D8: D3F3000C 1A022188
	v_mfma_f32_16x16x32_fp8_fp8 v[12:15], a[138:139], a[18:19], v[12:15]// 0000000053E0: D3F3000C 1C32258A
	buffer_load_dword v58, s[20:23], 0 offen lds               // 0000000053E8: E0511000 8005003A
	s_add_u32 m0, 0x900, s49                                   // 0000000053F0: 807C31FF 00000900
	v_mfma_f32_16x16x32_fp8_fp8 v[12:15], a[140:141], a[20:21], v[12:15]// 0000000053F8: D3F3000C 1C32298C
	v_mfma_f32_16x16x32_fp8_fp8 v[12:15], a[142:143], a[22:23], v[12:15]// 000000005400: D3F3000C 1C322D8E
	buffer_load_dword v59, s[20:23], 0 offen lds               // 000000005408: E0511000 8005003B
	s_add_u32 m0, 0, s50                                       // 000000005410: 807C3280
	v_fma_f32 v112, v8, v6, v112                               // 000000005414: D1CB0070 05C20D08
	v_fma_f32 v113, v9, v6, v113                               // 00000000541C: D1CB0071 05C60D09
	v_fma_f32 v114, v10, v6, v114                              // 000000005424: D1CB0072 05CA0D0A
	v_fma_f32 v115, v11, v6, v115                              // 00000000542C: D1CB0073 05CE0D0B
	v_mul_f32_dpp v4, v26, v48 row_newbcast:0 row_mask:0xf bank_mask:0xf// 000000005434: 0A0860FA FF01501A
	v_mfma_f32_16x16x32_fp8_fp8 v[8:11], a[112:113], a[24:25], 0// 00000000543C: D3F30008 1A023170
	v_mfma_f32_16x16x32_fp8_fp8 v[8:11], a[114:115], a[26:27], v[8:11]// 000000005444: D3F30008 1C223572
	buffer_load_dword v40, v30, s[28:31], 0 offen              // 00000000544C: E0501000 8007281E
	v_mfma_f32_16x16x32_fp8_fp8 v[8:11], a[116:117], a[28:29], v[8:11]// 000000005454: D3F30008 1C223974
	v_mfma_f32_16x16x32_fp8_fp8 v[8:11], a[118:119], a[30:31], v[8:11]// 00000000545C: D3F30008 1C223D76
	buffer_load_dword v41, v31, s[28:31], 0 offen              // 000000005464: E0501000 8007291F
	v_fma_f32 v132, v12, v6, v132                              // 00000000546C: D1CB0084 06120D0C
	v_fma_f32 v133, v13, v6, v133                              // 000000005474: D1CB0085 06160D0D
	v_fma_f32 v134, v14, v6, v134                              // 00000000547C: D1CB0086 061A0D0E
	v_fma_f32 v135, v15, v6, v135                              // 000000005484: D1CB0087 061E0D0F
	v_mfma_f32_16x16x32_fp8_fp8 v[12:15], a[120:121], a[24:25], 0// 00000000548C: D3F3000C 1A023178
	v_mfma_f32_16x16x32_fp8_fp8 v[12:15], a[122:123], a[26:27], v[12:15]// 000000005494: D3F3000C 1C32357A
	buffer_load_dword v42, v32, s[28:31], 0 offen              // 00000000549C: E0501000 80072A20
	v_mfma_f32_16x16x32_fp8_fp8 v[12:15], a[124:125], a[28:29], v[12:15]// 0000000054A4: D3F3000C 1C32397C
	v_mfma_f32_16x16x32_fp8_fp8 v[12:15], a[126:127], a[30:31], v[12:15]// 0000000054AC: D3F3000C 1C323D7E
	buffer_load_dword v43, v33, s[28:31], 0 offen              // 0000000054B4: E0501000 80072B21
	v_fma_f32 v76, v8, v4, v76                                 // 0000000054BC: D1CB004C 05320908
	v_fma_f32 v77, v9, v4, v77                                 // 0000000054C4: D1CB004D 05360909
	v_fma_f32 v78, v10, v4, v78                                // 0000000054CC: D1CB004E 053A090A
	v_fma_f32 v79, v11, v4, v79                                // 0000000054D4: D1CB004F 053E090B
	v_mul_f32_dpp v6, v26, v48 row_newbcast:1 row_mask:0xf bank_mask:0xf// 0000000054DC: 0A0C60FA FF01511A
	v_mfma_f32_16x16x32_fp8_fp8 v[8:11], a[128:129], a[24:25], 0// 0000000054E4: D3F30008 1A023180
	v_mfma_f32_16x16x32_fp8_fp8 v[8:11], a[130:131], a[26:27], v[8:11]// 0000000054EC: D3F30008 1C223582
	buffer_load_dword v44, v34, s[28:31], 0 offen              // 0000000054F4: E0501000 80072C22
	v_mfma_f32_16x16x32_fp8_fp8 v[8:11], a[132:133], a[28:29], v[8:11]// 0000000054FC: D3F30008 1C223984
	v_mfma_f32_16x16x32_fp8_fp8 v[8:11], a[134:135], a[30:31], v[8:11]// 000000005504: D3F30008 1C223D86
	v_fma_f32 v96, v12, v4, v96                                // 00000000550C: D1CB0060 0582090C
	v_fma_f32 v97, v13, v4, v97                                // 000000005514: D1CB0061 0586090D
	v_fma_f32 v98, v14, v4, v98                                // 00000000551C: D1CB0062 058A090E
	v_fma_f32 v99, v15, v4, v99                                // 000000005524: D1CB0063 058E090F
	v_mfma_f32_16x16x32_fp8_fp8 v[12:15], a[136:137], a[24:25], 0// 00000000552C: D3F3000C 1A023188
	v_mfma_f32_16x16x32_fp8_fp8 v[12:15], a[138:139], a[26:27], v[12:15]// 000000005534: D3F3000C 1C32358A
	v_mfma_f32_16x16x32_fp8_fp8 v[12:15], a[140:141], a[28:29], v[12:15]// 00000000553C: D3F3000C 1C32398C
	v_mfma_f32_16x16x32_fp8_fp8 v[12:15], a[142:143], a[30:31], v[12:15]// 000000005544: D3F3000C 1C323D8E
	v_fma_f32 v116, v8, v6, v116                               // 00000000554C: D1CB0074 05D20D08
	v_fma_f32 v117, v9, v6, v117                               // 000000005554: D1CB0075 05D60D09
	v_fma_f32 v118, v10, v6, v118                              // 00000000555C: D1CB0076 05DA0D0A
	v_fma_f32 v119, v11, v6, v119                              // 000000005564: D1CB0077 05DE0D0B
	v_mul_f32_dpp v4, v26, v49 row_newbcast:0 row_mask:0xf bank_mask:0xf// 00000000556C: 0A0862FA FF01501A
	v_mfma_f32_16x16x32_fp8_fp8 v[8:11], a[112:113], a[32:33], 0// 000000005574: D3F30008 1A024170
	v_mfma_f32_16x16x32_fp8_fp8 v[8:11], a[114:115], a[34:35], v[8:11]// 00000000557C: D3F30008 1C224572
	v_mfma_f32_16x16x32_fp8_fp8 v[8:11], a[116:117], a[36:37], v[8:11]// 000000005584: D3F30008 1C224974
	v_mfma_f32_16x16x32_fp8_fp8 v[8:11], a[118:119], a[38:39], v[8:11]// 00000000558C: D3F30008 1C224D76
	v_fma_f32 v136, v12, v6, v136                              // 000000005594: D1CB0088 06220D0C
	v_fma_f32 v137, v13, v6, v137                              // 00000000559C: D1CB0089 06260D0D
	v_fma_f32 v138, v14, v6, v138                              // 0000000055A4: D1CB008A 062A0D0E
	v_fma_f32 v139, v15, v6, v139                              // 0000000055AC: D1CB008B 062E0D0F
	v_mfma_f32_16x16x32_fp8_fp8 v[12:15], a[120:121], a[32:33], 0// 0000000055B4: D3F3000C 1A024178
	v_mfma_f32_16x16x32_fp8_fp8 v[12:15], a[122:123], a[34:35], v[12:15]// 0000000055BC: D3F3000C 1C32457A
	v_mfma_f32_16x16x32_fp8_fp8 v[12:15], a[124:125], a[36:37], v[12:15]// 0000000055C4: D3F3000C 1C32497C
	v_mfma_f32_16x16x32_fp8_fp8 v[12:15], a[126:127], a[38:39], v[12:15]// 0000000055CC: D3F3000C 1C324D7E
	v_fma_f32 v80, v8, v4, v80                                 // 0000000055D4: D1CB0050 05420908
	v_fma_f32 v81, v9, v4, v81                                 // 0000000055DC: D1CB0051 05460909
	v_fma_f32 v82, v10, v4, v82                                // 0000000055E4: D1CB0052 054A090A
	v_fma_f32 v83, v11, v4, v83                                // 0000000055EC: D1CB0053 054E090B
	v_mul_f32_dpp v6, v26, v49 row_newbcast:1 row_mask:0xf bank_mask:0xf// 0000000055F4: 0A0C62FA FF01511A
	v_mfma_f32_16x16x32_fp8_fp8 v[8:11], a[128:129], a[32:33], 0// 0000000055FC: D3F30008 1A024180
	v_mfma_f32_16x16x32_fp8_fp8 v[8:11], a[130:131], a[34:35], v[8:11]// 000000005604: D3F30008 1C224582
	v_mfma_f32_16x16x32_fp8_fp8 v[8:11], a[132:133], a[36:37], v[8:11]// 00000000560C: D3F30008 1C224984
	v_mfma_f32_16x16x32_fp8_fp8 v[8:11], a[134:135], a[38:39], v[8:11]// 000000005614: D3F30008 1C224D86
	v_fma_f32 v100, v12, v4, v100                              // 00000000561C: D1CB0064 0592090C
	v_fma_f32 v101, v13, v4, v101                              // 000000005624: D1CB0065 0596090D
	v_fma_f32 v102, v14, v4, v102                              // 00000000562C: D1CB0066 059A090E
	v_fma_f32 v103, v15, v4, v103                              // 000000005634: D1CB0067 059E090F
	v_mfma_f32_16x16x32_fp8_fp8 v[12:15], a[136:137], a[32:33], 0// 00000000563C: D3F3000C 1A024188
	v_mfma_f32_16x16x32_fp8_fp8 v[12:15], a[138:139], a[34:35], v[12:15]// 000000005644: D3F3000C 1C32458A
	v_mfma_f32_16x16x32_fp8_fp8 v[12:15], a[140:141], a[36:37], v[12:15]// 00000000564C: D3F3000C 1C32498C
	v_mfma_f32_16x16x32_fp8_fp8 v[12:15], a[142:143], a[38:39], v[12:15]// 000000005654: D3F3000C 1C324D8E
	v_fma_f32 v120, v8, v6, v120                               // 00000000565C: D1CB0078 05E20D08
	v_fma_f32 v121, v9, v6, v121                               // 000000005664: D1CB0079 05E60D09
	v_fma_f32 v122, v10, v6, v122                              // 00000000566C: D1CB007A 05EA0D0A
	v_fma_f32 v123, v11, v6, v123                              // 000000005674: D1CB007B 05EE0D0B
	v_fma_f32 v140, v12, v6, v140                              // 00000000567C: D1CB008C 06320D0C
	v_fma_f32 v141, v13, v6, v141                              // 000000005684: D1CB008D 06360D0D
	v_fma_f32 v142, v14, v6, v142                              // 00000000568C: D1CB008E 063A0D0E
	v_fma_f32 v143, v15, v6, v143                              // 000000005694: D1CB008F 063E0D0F
	s_waitcnt vmcnt(24)                                        // 00000000569C: BF8C4F78
	s_barrier                                                  // 0000000056A0: BF8A0000
	v_mul_f32_dpp v4, v29, v45 row_newbcast:0 row_mask:0xf bank_mask:0xf// 0000000056A4: 0A085AFA FF01501D
	v_mfma_f32_16x16x32_fp8_fp8 v[8:11], a[144:145], a[0:1], 0 // 0000000056AC: D3F30008 1A020190
	buffer_load_dword v27, v23, s[32:35], 0 offen              // 0000000056B4: E0501000 80081B17
	v_mfma_f32_16x16x32_fp8_fp8 v[8:11], a[146:147], a[2:3], v[8:11]// 0000000056BC: D3F30008 1C220592
	buffer_load_dwordx4 a[112:115], v60, s[84:87], 0 offen     // 0000000056C4: E05C1000 8095703C
	v_mfma_f32_16x16x32_fp8_fp8 v[8:11], a[148:149], a[4:5], v[8:11]// 0000000056CC: D3F30008 1C220994
	v_mfma_f32_16x16x32_fp8_fp8 v[8:11], a[150:151], a[6:7], v[8:11]// 0000000056D4: D3F30008 1C220D96
	ds_read_b128 a[40:43], v2                                  // 0000000056DC: DBFE0000 28000002
	ds_read_b128 a[44:47], v2 offset:64                        // 0000000056E4: DBFE0040 2C000002
	v_mfma_f32_16x16x32_fp8_fp8 v[12:15], a[152:153], a[0:1], 0// 0000000056EC: D3F3000C 1A020198
	v_mfma_f32_16x16x32_fp8_fp8 v[12:15], a[154:155], a[2:3], v[12:15]// 0000000056F4: D3F3000C 1C32059A
	buffer_load_dwordx4 a[116:119], v60, s[84:87], 0 offen offset:1024// 0000000056FC: E05C1400 8095743C
	v_mfma_f32_16x16x32_fp8_fp8 v[12:15], a[156:157], a[4:5], v[12:15]// 000000005704: D3F3000C 1C32099C
	v_mfma_f32_16x16x32_fp8_fp8 v[12:15], a[158:159], a[6:7], v[12:15]// 00000000570C: D3F3000C 1C320D9E
	ds_read_b128 a[48:51], v2 offset:512                       // 000000005714: DBFE0200 30000002
	ds_read_b128 a[52:55], v2 offset:576                       // 00000000571C: DBFE0240 34000002
	v_fma_f32 v144, v8, v4, v144                               // 000000005724: D1CB0090 06420908
	v_fma_f32 v145, v9, v4, v145                               // 00000000572C: D1CB0091 06460909
	v_fma_f32 v146, v10, v4, v146                              // 000000005734: D1CB0092 064A090A
	v_fma_f32 v147, v11, v4, v147                              // 00000000573C: D1CB0093 064E090B
	v_mul_f32_dpp v6, v29, v45 row_newbcast:1 row_mask:0xf bank_mask:0xf// 000000005744: 0A0C5AFA FF01511D
	v_mfma_f32_16x16x32_fp8_fp8 v[8:11], a[160:161], a[0:1], 0 // 00000000574C: D3F30008 1A0201A0
	v_mfma_f32_16x16x32_fp8_fp8 v[8:11], a[162:163], a[2:3], v[8:11]// 000000005754: D3F30008 1C2205A2
	buffer_load_dwordx4 a[120:123], v61, s[84:87], 0 offen     // 00000000575C: E05C1000 8095783D
	v_mfma_f32_16x16x32_fp8_fp8 v[8:11], a[164:165], a[4:5], v[8:11]// 000000005764: D3F30008 1C2209A4
	v_mfma_f32_16x16x32_fp8_fp8 v[8:11], a[166:167], a[6:7], v[8:11]// 00000000576C: D3F30008 1C220DA6
	ds_read_b128 a[56:59], v2 offset:1024                      // 000000005774: DBFE0400 38000002
	ds_read_b128 a[60:63], v2 offset:1088                      // 00000000577C: DBFE0440 3C000002
	v_fma_f32 v164, v12, v4, v164                              // 000000005784: D1CB00A4 0692090C
	v_fma_f32 v165, v13, v4, v165                              // 00000000578C: D1CB00A5 0696090D
	v_fma_f32 v166, v14, v4, v166                              // 000000005794: D1CB00A6 069A090E
	v_fma_f32 v167, v15, v4, v167                              // 00000000579C: D1CB00A7 069E090F
	v_mfma_f32_16x16x32_fp8_fp8 v[12:15], a[168:169], a[0:1], 0// 0000000057A4: D3F3000C 1A0201A8
	v_mfma_f32_16x16x32_fp8_fp8 v[12:15], a[170:171], a[2:3], v[12:15]// 0000000057AC: D3F3000C 1C3205AA
	buffer_load_dwordx4 a[124:127], v61, s[84:87], 0 offen offset:1024// 0000000057B4: E05C1400 80957C3D
	v_mfma_f32_16x16x32_fp8_fp8 v[12:15], a[172:173], a[4:5], v[12:15]// 0000000057BC: D3F3000C 1C3209AC
	v_mfma_f32_16x16x32_fp8_fp8 v[12:15], a[174:175], a[6:7], v[12:15]// 0000000057C4: D3F3000C 1C320DAE
	ds_read_b128 a[64:67], v2 offset:1536                      // 0000000057CC: DBFE0600 40000002
	ds_read_b128 a[68:71], v2 offset:1600                      // 0000000057D4: DBFE0640 44000002
	v_fma_f32 v184, v8, v6, v184                               // 0000000057DC: D1CB00B8 06E20D08
	v_fma_f32 v185, v9, v6, v185                               // 0000000057E4: D1CB00B9 06E60D09
	v_fma_f32 v186, v10, v6, v186                              // 0000000057EC: D1CB00BA 06EA0D0A
	v_fma_f32 v187, v11, v6, v187                              // 0000000057F4: D1CB00BB 06EE0D0B
	v_mul_f32_dpp v4, v29, v46 row_newbcast:0 row_mask:0xf bank_mask:0xf// 0000000057FC: 0A085CFA FF01501D
	v_mfma_f32_16x16x32_fp8_fp8 v[8:11], a[144:145], a[8:9], 0 // 000000005804: D3F30008 1A021190
	v_mfma_f32_16x16x32_fp8_fp8 v[8:11], a[146:147], a[10:11], v[8:11]// 00000000580C: D3F30008 1C221592
	buffer_load_dwordx4 a[128:131], v62, s[84:87], 0 offen     // 000000005814: E05C1000 8095803E
	v_mfma_f32_16x16x32_fp8_fp8 v[8:11], a[148:149], a[12:13], v[8:11]// 00000000581C: D3F30008 1C221994
	v_mfma_f32_16x16x32_fp8_fp8 v[8:11], a[150:151], a[14:15], v[8:11]// 000000005824: D3F30008 1C221D96
	ds_read_b128 a[72:75], v2 offset:2048                      // 00000000582C: DBFE0800 48000002
	ds_read_b128 a[76:79], v2 offset:2112                      // 000000005834: DBFE0840 4C000002
	v_fma_f32 v204, v12, v6, v204                              // 00000000583C: D1CB00CC 07320D0C
	v_fma_f32 v205, v13, v6, v205                              // 000000005844: D1CB00CD 07360D0D
	v_fma_f32 v206, v14, v6, v206                              // 00000000584C: D1CB00CE 073A0D0E
	v_fma_f32 v207, v15, v6, v207                              // 000000005854: D1CB00CF 073E0D0F
	v_mfma_f32_16x16x32_fp8_fp8 v[12:15], a[152:153], a[8:9], 0// 00000000585C: D3F3000C 1A021198
	v_mfma_f32_16x16x32_fp8_fp8 v[12:15], a[154:155], a[10:11], v[12:15]// 000000005864: D3F3000C 1C32159A
	buffer_load_dwordx4 a[132:135], v62, s[84:87], 0 offen offset:1024// 00000000586C: E05C1400 8095843E
	v_mfma_f32_16x16x32_fp8_fp8 v[12:15], a[156:157], a[12:13], v[12:15]// 000000005874: D3F3000C 1C32199C
	v_mfma_f32_16x16x32_fp8_fp8 v[12:15], a[158:159], a[14:15], v[12:15]// 00000000587C: D3F3000C 1C321D9E
	v_fma_f32 v148, v8, v4, v148                               // 000000005884: D1CB0094 06520908
	v_fma_f32 v149, v9, v4, v149                               // 00000000588C: D1CB0095 06560909
	v_fma_f32 v150, v10, v4, v150                              // 000000005894: D1CB0096 065A090A
	v_fma_f32 v151, v11, v4, v151                              // 00000000589C: D1CB0097 065E090B
	v_mul_f32_dpp v6, v29, v46 row_newbcast:1 row_mask:0xf bank_mask:0xf// 0000000058A4: 0A0C5CFA FF01511D
	v_mfma_f32_16x16x32_fp8_fp8 v[8:11], a[160:161], a[8:9], 0 // 0000000058AC: D3F30008 1A0211A0
	v_mfma_f32_16x16x32_fp8_fp8 v[8:11], a[162:163], a[10:11], v[8:11]// 0000000058B4: D3F30008 1C2215A2
	buffer_load_dwordx4 a[136:139], v63, s[84:87], 0 offen     // 0000000058BC: E05C1000 8095883F
	v_mfma_f32_16x16x32_fp8_fp8 v[8:11], a[164:165], a[12:13], v[8:11]// 0000000058C4: D3F30008 1C2219A4
	v_mfma_f32_16x16x32_fp8_fp8 v[8:11], a[166:167], a[14:15], v[8:11]// 0000000058CC: D3F30008 1C221DA6
	v_fma_f32 v168, v12, v4, v168                              // 0000000058D4: D1CB00A8 06A2090C
	v_fma_f32 v169, v13, v4, v169                              // 0000000058DC: D1CB00A9 06A6090D
	v_fma_f32 v170, v14, v4, v170                              // 0000000058E4: D1CB00AA 06AA090E
	v_fma_f32 v171, v15, v4, v171                              // 0000000058EC: D1CB00AB 06AE090F
	v_mfma_f32_16x16x32_fp8_fp8 v[12:15], a[168:169], a[8:9], 0// 0000000058F4: D3F3000C 1A0211A8
	v_mfma_f32_16x16x32_fp8_fp8 v[12:15], a[170:171], a[10:11], v[12:15]// 0000000058FC: D3F3000C 1C3215AA
	buffer_load_dwordx4 a[140:143], v63, s[84:87], 0 offen offset:1024// 000000005904: E05C1400 80958C3F
	v_mfma_f32_16x16x32_fp8_fp8 v[12:15], a[172:173], a[12:13], v[12:15]// 00000000590C: D3F3000C 1C3219AC
	v_mfma_f32_16x16x32_fp8_fp8 v[12:15], a[174:175], a[14:15], v[12:15]// 000000005914: D3F3000C 1C321DAE
	v_fma_f32 v188, v8, v6, v188                               // 00000000591C: D1CB00BC 06F20D08
	v_fma_f32 v189, v9, v6, v189                               // 000000005924: D1CB00BD 06F60D09
	v_fma_f32 v190, v10, v6, v190                              // 00000000592C: D1CB00BE 06FA0D0A
	v_fma_f32 v191, v11, v6, v191                              // 000000005934: D1CB00BF 06FE0D0B
	v_mul_f32_dpp v4, v29, v47 row_newbcast:0 row_mask:0xf bank_mask:0xf// 00000000593C: 0A085EFA FF01501D
	v_mfma_f32_16x16x32_fp8_fp8 v[8:11], a[144:145], a[16:17], 0// 000000005944: D3F30008 1A022190
	v_mfma_f32_16x16x32_fp8_fp8 v[8:11], a[146:147], a[18:19], v[8:11]// 00000000594C: D3F30008 1C222592
	v_mfma_f32_16x16x32_fp8_fp8 v[8:11], a[148:149], a[20:21], v[8:11]// 000000005954: D3F30008 1C222994
	v_mfma_f32_16x16x32_fp8_fp8 v[8:11], a[150:151], a[22:23], v[8:11]// 00000000595C: D3F30008 1C222D96
	v_fma_f32 v208, v12, v6, v208                              // 000000005964: D1CB00D0 07420D0C
	v_fma_f32 v209, v13, v6, v209                              // 00000000596C: D1CB00D1 07460D0D
	v_fma_f32 v210, v14, v6, v210                              // 000000005974: D1CB00D2 074A0D0E
	v_fma_f32 v211, v15, v6, v211                              // 00000000597C: D1CB00D3 074E0D0F
	v_mfma_f32_16x16x32_fp8_fp8 v[12:15], a[152:153], a[16:17], 0// 000000005984: D3F3000C 1A022198
	v_mfma_f32_16x16x32_fp8_fp8 v[12:15], a[154:155], a[18:19], v[12:15]// 00000000598C: D3F3000C 1C32259A
	v_mfma_f32_16x16x32_fp8_fp8 v[12:15], a[156:157], a[20:21], v[12:15]// 000000005994: D3F3000C 1C32299C
	v_mfma_f32_16x16x32_fp8_fp8 v[12:15], a[158:159], a[22:23], v[12:15]// 00000000599C: D3F3000C 1C322D9E
	v_fma_f32 v152, v8, v4, v152                               // 0000000059A4: D1CB0098 06620908
	v_fma_f32 v153, v9, v4, v153                               // 0000000059AC: D1CB0099 06660909
	v_fma_f32 v154, v10, v4, v154                              // 0000000059B4: D1CB009A 066A090A
	v_fma_f32 v155, v11, v4, v155                              // 0000000059BC: D1CB009B 066E090B
	v_mul_f32_dpp v6, v29, v47 row_newbcast:1 row_mask:0xf bank_mask:0xf// 0000000059C4: 0A0C5EFA FF01511D
	v_mfma_f32_16x16x32_fp8_fp8 v[8:11], a[160:161], a[16:17], 0// 0000000059CC: D3F30008 1A0221A0
	v_mfma_f32_16x16x32_fp8_fp8 v[8:11], a[162:163], a[18:19], v[8:11]// 0000000059D4: D3F30008 1C2225A2
	v_mfma_f32_16x16x32_fp8_fp8 v[8:11], a[164:165], a[20:21], v[8:11]// 0000000059DC: D3F30008 1C2229A4
	v_mfma_f32_16x16x32_fp8_fp8 v[8:11], a[166:167], a[22:23], v[8:11]// 0000000059E4: D3F30008 1C222DA6
	v_fma_f32 v172, v12, v4, v172                              // 0000000059EC: D1CB00AC 06B2090C
	v_fma_f32 v173, v13, v4, v173                              // 0000000059F4: D1CB00AD 06B6090D
	v_fma_f32 v174, v14, v4, v174                              // 0000000059FC: D1CB00AE 06BA090E
	v_fma_f32 v175, v15, v4, v175                              // 000000005A04: D1CB00AF 06BE090F
	v_mfma_f32_16x16x32_fp8_fp8 v[12:15], a[168:169], a[16:17], 0// 000000005A0C: D3F3000C 1A0221A8
	v_mfma_f32_16x16x32_fp8_fp8 v[12:15], a[170:171], a[18:19], v[12:15]// 000000005A14: D3F3000C 1C3225AA
	v_mfma_f32_16x16x32_fp8_fp8 v[12:15], a[172:173], a[20:21], v[12:15]// 000000005A1C: D3F3000C 1C3229AC
	v_mfma_f32_16x16x32_fp8_fp8 v[12:15], a[174:175], a[22:23], v[12:15]// 000000005A24: D3F3000C 1C322DAE
	v_fma_f32 v192, v8, v6, v192                               // 000000005A2C: D1CB00C0 07020D08
	v_fma_f32 v193, v9, v6, v193                               // 000000005A34: D1CB00C1 07060D09
	v_fma_f32 v194, v10, v6, v194                              // 000000005A3C: D1CB00C2 070A0D0A
	v_fma_f32 v195, v11, v6, v195                              // 000000005A44: D1CB00C3 070E0D0B
	v_mul_f32_dpp v4, v29, v48 row_newbcast:0 row_mask:0xf bank_mask:0xf// 000000005A4C: 0A0860FA FF01501D
	v_mfma_f32_16x16x32_fp8_fp8 v[8:11], a[144:145], a[24:25], 0// 000000005A54: D3F30008 1A023190
	v_mfma_f32_16x16x32_fp8_fp8 v[8:11], a[146:147], a[26:27], v[8:11]// 000000005A5C: D3F30008 1C223592
	v_mfma_f32_16x16x32_fp8_fp8 v[8:11], a[148:149], a[28:29], v[8:11]// 000000005A64: D3F30008 1C223994
	v_mfma_f32_16x16x32_fp8_fp8 v[8:11], a[150:151], a[30:31], v[8:11]// 000000005A6C: D3F30008 1C223D96
	v_fma_f32 v212, v12, v6, v212                              // 000000005A74: D1CB00D4 07520D0C
	v_fma_f32 v213, v13, v6, v213                              // 000000005A7C: D1CB00D5 07560D0D
	v_fma_f32 v214, v14, v6, v214                              // 000000005A84: D1CB00D6 075A0D0E
	v_fma_f32 v215, v15, v6, v215                              // 000000005A8C: D1CB00D7 075E0D0F
	v_mfma_f32_16x16x32_fp8_fp8 v[12:15], a[152:153], a[24:25], 0// 000000005A94: D3F3000C 1A023198
	v_mfma_f32_16x16x32_fp8_fp8 v[12:15], a[154:155], a[26:27], v[12:15]// 000000005A9C: D3F3000C 1C32359A
	v_mfma_f32_16x16x32_fp8_fp8 v[12:15], a[156:157], a[28:29], v[12:15]// 000000005AA4: D3F3000C 1C32399C
	v_mfma_f32_16x16x32_fp8_fp8 v[12:15], a[158:159], a[30:31], v[12:15]// 000000005AAC: D3F3000C 1C323D9E
	v_fma_f32 v156, v8, v4, v156                               // 000000005AB4: D1CB009C 06720908
	v_fma_f32 v157, v9, v4, v157                               // 000000005ABC: D1CB009D 06760909
	v_fma_f32 v158, v10, v4, v158                              // 000000005AC4: D1CB009E 067A090A
	v_fma_f32 v159, v11, v4, v159                              // 000000005ACC: D1CB009F 067E090B
	v_mul_f32_dpp v6, v29, v48 row_newbcast:1 row_mask:0xf bank_mask:0xf// 000000005AD4: 0A0C60FA FF01511D
	v_mfma_f32_16x16x32_fp8_fp8 v[8:11], a[160:161], a[24:25], 0// 000000005ADC: D3F30008 1A0231A0
	v_mfma_f32_16x16x32_fp8_fp8 v[8:11], a[162:163], a[26:27], v[8:11]// 000000005AE4: D3F30008 1C2235A2
	v_mfma_f32_16x16x32_fp8_fp8 v[8:11], a[164:165], a[28:29], v[8:11]// 000000005AEC: D3F30008 1C2239A4
	v_mfma_f32_16x16x32_fp8_fp8 v[8:11], a[166:167], a[30:31], v[8:11]// 000000005AF4: D3F30008 1C223DA6
	v_fma_f32 v176, v12, v4, v176                              // 000000005AFC: D1CB00B0 06C2090C
	v_fma_f32 v177, v13, v4, v177                              // 000000005B04: D1CB00B1 06C6090D
	v_fma_f32 v178, v14, v4, v178                              // 000000005B0C: D1CB00B2 06CA090E
	v_fma_f32 v179, v15, v4, v179                              // 000000005B14: D1CB00B3 06CE090F
	v_mfma_f32_16x16x32_fp8_fp8 v[12:15], a[168:169], a[24:25], 0// 000000005B1C: D3F3000C 1A0231A8
	v_mfma_f32_16x16x32_fp8_fp8 v[12:15], a[170:171], a[26:27], v[12:15]// 000000005B24: D3F3000C 1C3235AA
	v_mfma_f32_16x16x32_fp8_fp8 v[12:15], a[172:173], a[28:29], v[12:15]// 000000005B2C: D3F3000C 1C3239AC
	v_mfma_f32_16x16x32_fp8_fp8 v[12:15], a[174:175], a[30:31], v[12:15]// 000000005B34: D3F3000C 1C323DAE
	v_fma_f32 v196, v8, v6, v196                               // 000000005B3C: D1CB00C4 07120D08
	v_fma_f32 v197, v9, v6, v197                               // 000000005B44: D1CB00C5 07160D09
	v_fma_f32 v198, v10, v6, v198                              // 000000005B4C: D1CB00C6 071A0D0A
	v_fma_f32 v199, v11, v6, v199                              // 000000005B54: D1CB00C7 071E0D0B
	v_mul_f32_dpp v4, v29, v49 row_newbcast:0 row_mask:0xf bank_mask:0xf// 000000005B5C: 0A0862FA FF01501D
	v_mfma_f32_16x16x32_fp8_fp8 v[8:11], a[144:145], a[32:33], 0// 000000005B64: D3F30008 1A024190
	v_mfma_f32_16x16x32_fp8_fp8 v[8:11], a[146:147], a[34:35], v[8:11]// 000000005B6C: D3F30008 1C224592
	v_mfma_f32_16x16x32_fp8_fp8 v[8:11], a[148:149], a[36:37], v[8:11]// 000000005B74: D3F30008 1C224994
	v_mfma_f32_16x16x32_fp8_fp8 v[8:11], a[150:151], a[38:39], v[8:11]// 000000005B7C: D3F30008 1C224D96
	v_fma_f32 v216, v12, v6, v216                              // 000000005B84: D1CB00D8 07620D0C
	v_fma_f32 v217, v13, v6, v217                              // 000000005B8C: D1CB00D9 07660D0D
	v_fma_f32 v218, v14, v6, v218                              // 000000005B94: D1CB00DA 076A0D0E
	v_fma_f32 v219, v15, v6, v219                              // 000000005B9C: D1CB00DB 076E0D0F
	v_mfma_f32_16x16x32_fp8_fp8 v[12:15], a[152:153], a[32:33], 0// 000000005BA4: D3F3000C 1A024198
	v_mfma_f32_16x16x32_fp8_fp8 v[12:15], a[154:155], a[34:35], v[12:15]// 000000005BAC: D3F3000C 1C32459A
	v_mfma_f32_16x16x32_fp8_fp8 v[12:15], a[156:157], a[36:37], v[12:15]// 000000005BB4: D3F3000C 1C32499C
	v_mfma_f32_16x16x32_fp8_fp8 v[12:15], a[158:159], a[38:39], v[12:15]// 000000005BBC: D3F3000C 1C324D9E
	v_fma_f32 v160, v8, v4, v160                               // 000000005BC4: D1CB00A0 06820908
	v_fma_f32 v161, v9, v4, v161                               // 000000005BCC: D1CB00A1 06860909
	v_fma_f32 v162, v10, v4, v162                              // 000000005BD4: D1CB00A2 068A090A
	v_fma_f32 v163, v11, v4, v163                              // 000000005BDC: D1CB00A3 068E090B
	v_mul_f32_dpp v6, v29, v49 row_newbcast:1 row_mask:0xf bank_mask:0xf// 000000005BE4: 0A0C62FA FF01511D
	v_mfma_f32_16x16x32_fp8_fp8 v[8:11], a[160:161], a[32:33], 0// 000000005BEC: D3F30008 1A0241A0
	s_add_u32 s60, 0x180, s80                                  // 000000005BF4: 803C50FF 00000180
	s_cmp_lt_u32 s60, s81                                      // 000000005BFC: BF0A513C
	s_cselect_b32 s57, s57, 0                                  // 000000005C00: 85398039
	s_cselect_b32 s3, s3, 0                                    // 000000005C04: 85038003
	v_mfma_f32_16x16x32_fp8_fp8 v[8:11], a[162:163], a[34:35], v[8:11]// 000000005C08: D3F30008 1C2245A2
	s_add_u32 s60, 0x100, s80                                  // 000000005C10: 803C50FF 00000100
	s_cmp_lt_u32 s60, s81                                      // 000000005C18: BF0A513C
	s_cselect_b32 s58, s58, 0                                  // 000000005C1C: 853A803A
	v_mfma_f32_16x16x32_fp8_fp8 v[8:11], a[164:165], a[36:37], v[8:11]// 000000005C20: D3F30008 1C2249A4
	s_add_u32 s60, 0x100, s80                                  // 000000005C28: 803C50FF 00000100
	s_cmp_lt_u32 s60, s81                                      // 000000005C30: BF0A513C
	s_cselect_b32 s83, s83, 0                                  // 000000005C34: 85538053
	s_cselect_b32 s4, s4, 0                                    // 000000005C38: 85048004
	v_mfma_f32_16x16x32_fp8_fp8 v[8:11], a[166:167], a[38:39], v[8:11]// 000000005C3C: D3F30008 1C224DA6
	s_add_u32 s24, s58, s24                                    // 000000005C44: 8018183A
	s_addc_u32 s25, 0, s25                                     // 000000005C48: 82191980
	v_fma_f32 v180, v12, v4, v180                              // 000000005C4C: D1CB00B4 06D2090C
	v_fma_f32 v181, v13, v4, v181                              // 000000005C54: D1CB00B5 06D6090D
	v_fma_f32 v182, v14, v4, v182                              // 000000005C5C: D1CB00B6 06DA090E
	v_fma_f32 v183, v15, v4, v183                              // 000000005C64: D1CB00B7 06DE090F
	v_mfma_f32_16x16x32_fp8_fp8 v[12:15], a[168:169], a[32:33], 0// 000000005C6C: D3F3000C 1A0241A8
	s_add_u32 s20, s57, s20                                    // 000000005C74: 80141439
	s_addc_u32 s21, 0, s21                                     // 000000005C78: 82151580
	s_add_u32 s28, s3, s28                                     // 000000005C7C: 801C1C03
	s_addc_u32 s29, 0, s29                                     // 000000005C80: 821D1D80
	v_mfma_f32_16x16x32_fp8_fp8 v[12:15], a[170:171], a[34:35], v[12:15]// 000000005C84: D3F3000C 1C3245AA
	s_add_u32 s84, s83, s84                                    // 000000005C8C: 80545453
	s_addc_u32 s85, 0, s85                                     // 000000005C90: 82555580
	v_mfma_f32_16x16x32_fp8_fp8 v[12:15], a[172:173], a[36:37], v[12:15]// 000000005C94: D3F3000C 1C3249AC
	s_add_u32 s32, s4, s32                                     // 000000005C9C: 80202004
	s_addc_u32 s33, 0, s33                                     // 000000005CA0: 82212180
	v_mfma_f32_16x16x32_fp8_fp8 v[12:15], a[174:175], a[38:39], v[12:15]// 000000005CA4: D3F3000C 1C324DAE
	v_fma_f32 v200, v8, v6, v200                               // 000000005CAC: D1CB00C8 07220D08
	v_fma_f32 v201, v9, v6, v201                               // 000000005CB4: D1CB00C9 07260D09
	v_fma_f32 v202, v10, v6, v202                              // 000000005CBC: D1CB00CA 072A0D0A
	v_fma_f32 v203, v11, v6, v203                              // 000000005CC4: D1CB00CB 072E0D0B
	v_fma_f32 v220, v12, v6, v220                              // 000000005CCC: D1CB00DC 07720D0C
	v_fma_f32 v221, v13, v6, v221                              // 000000005CD4: D1CB00DD 07760D0D
	v_fma_f32 v222, v14, v6, v222                              // 000000005CDC: D1CB00DE 077A0D0E
	v_fma_f32 v223, v15, v6, v223                              // 000000005CE4: D1CB00DF 077E0D0F
	s_addk_i32 s80, 0x80                                       // 000000005CEC: B7500080
	s_cmp_lt_i32 s80, s81                                      // 000000005CF0: BF045150
	s_cbranch_scc0 label_164C                                  // 000000005CF4: BF84098E
	s_waitcnt vmcnt(24) lgkmcnt(0)                             // 000000005CF8: BF8C4078
	v_mul_f32_dpp v4, v24, v35 row_newbcast:0 row_mask:0xf bank_mask:0xf// 000000005CFC: 0A0846FA FF015018
	v_mfma_f32_16x16x32_fp8_fp8 v[8:11], a[80:81], a[40:41], 0 // 000000005D04: D3F30008 1A025150
	buffer_load_dword v25, v22, s[32:35], 0 offen              // 000000005D0C: E0501000 80081916
	v_mfma_f32_16x16x32_fp8_fp8 v[8:11], a[82:83], a[42:43], v[8:11]// 000000005D14: D3F30008 1C225552
	buffer_load_dwordx4 a[144:147], v60, s[24:27], 0 offen     // 000000005D1C: E05C1000 8086903C
	v_mfma_f32_16x16x32_fp8_fp8 v[8:11], a[84:85], a[44:45], v[8:11]// 000000005D24: D3F30008 1C225954
	v_mfma_f32_16x16x32_fp8_fp8 v[8:11], a[86:87], a[46:47], v[8:11]// 000000005D2C: D3F30008 1C225D56
	v_mfma_f32_16x16x32_fp8_fp8 v[12:15], a[88:89], a[40:41], 0// 000000005D34: D3F3000C 1A025158
	v_mfma_f32_16x16x32_fp8_fp8 v[12:15], a[90:91], a[42:43], v[12:15]// 000000005D3C: D3F3000C 1C32555A
	buffer_load_dwordx4 a[148:151], v60, s[24:27], 0 offen offset:1024// 000000005D44: E05C1400 8086943C
	v_mfma_f32_16x16x32_fp8_fp8 v[12:15], a[92:93], a[44:45], v[12:15]// 000000005D4C: D3F3000C 1C32595C
	v_mfma_f32_16x16x32_fp8_fp8 v[12:15], a[94:95], a[46:47], v[12:15]// 000000005D54: D3F3000C 1C325D5E
	v_fma_f32 v64, v8, v4, v64                                 // 000000005D5C: D1CB0040 05020908
	v_fma_f32 v65, v9, v4, v65                                 // 000000005D64: D1CB0041 05060909
	v_fma_f32 v66, v10, v4, v66                                // 000000005D6C: D1CB0042 050A090A
	v_fma_f32 v67, v11, v4, v67                                // 000000005D74: D1CB0043 050E090B
	v_mul_f32_dpp v6, v24, v35 row_newbcast:1 row_mask:0xf bank_mask:0xf// 000000005D7C: 0A0C46FA FF015118
	v_mfma_f32_16x16x32_fp8_fp8 v[8:11], a[96:97], a[40:41], 0 // 000000005D84: D3F30008 1A025160
	v_mfma_f32_16x16x32_fp8_fp8 v[8:11], a[98:99], a[42:43], v[8:11]// 000000005D8C: D3F30008 1C225562
	buffer_load_dwordx4 a[152:155], v61, s[24:27], 0 offen     // 000000005D94: E05C1000 8086983D
	v_mfma_f32_16x16x32_fp8_fp8 v[8:11], a[100:101], a[44:45], v[8:11]// 000000005D9C: D3F30008 1C225964
	v_mfma_f32_16x16x32_fp8_fp8 v[8:11], a[102:103], a[46:47], v[8:11]// 000000005DA4: D3F30008 1C225D66
	v_fma_f32 v84, v12, v4, v84                                // 000000005DAC: D1CB0054 0552090C
	v_fma_f32 v85, v13, v4, v85                                // 000000005DB4: D1CB0055 0556090D
	v_fma_f32 v86, v14, v4, v86                                // 000000005DBC: D1CB0056 055A090E
	v_fma_f32 v87, v15, v4, v87                                // 000000005DC4: D1CB0057 055E090F
	v_mfma_f32_16x16x32_fp8_fp8 v[12:15], a[104:105], a[40:41], 0// 000000005DCC: D3F3000C 1A025168
	v_mfma_f32_16x16x32_fp8_fp8 v[12:15], a[106:107], a[42:43], v[12:15]// 000000005DD4: D3F3000C 1C32556A
	buffer_load_dwordx4 a[156:159], v61, s[24:27], 0 offen offset:1024// 000000005DDC: E05C1400 80869C3D
	v_mfma_f32_16x16x32_fp8_fp8 v[12:15], a[108:109], a[44:45], v[12:15]// 000000005DE4: D3F3000C 1C32596C
	v_mfma_f32_16x16x32_fp8_fp8 v[12:15], a[110:111], a[46:47], v[12:15]// 000000005DEC: D3F3000C 1C325D6E
	v_fma_f32 v104, v8, v6, v104                               // 000000005DF4: D1CB0068 05A20D08
	v_fma_f32 v105, v9, v6, v105                               // 000000005DFC: D1CB0069 05A60D09
	v_fma_f32 v106, v10, v6, v106                              // 000000005E04: D1CB006A 05AA0D0A
	v_fma_f32 v107, v11, v6, v107                              // 000000005E0C: D1CB006B 05AE0D0B
	v_mul_f32_dpp v4, v24, v36 row_newbcast:0 row_mask:0xf bank_mask:0xf// 000000005E14: 0A0848FA FF015018
	v_mfma_f32_16x16x32_fp8_fp8 v[8:11], a[80:81], a[48:49], 0 // 000000005E1C: D3F30008 1A026150
	v_mfma_f32_16x16x32_fp8_fp8 v[8:11], a[82:83], a[50:51], v[8:11]// 000000005E24: D3F30008 1C226552
	buffer_load_dwordx4 a[160:163], v62, s[24:27], 0 offen     // 000000005E2C: E05C1000 8086A03E
	v_mfma_f32_16x16x32_fp8_fp8 v[8:11], a[84:85], a[52:53], v[8:11]// 000000005E34: D3F30008 1C226954
	v_mfma_f32_16x16x32_fp8_fp8 v[8:11], a[86:87], a[54:55], v[8:11]// 000000005E3C: D3F30008 1C226D56
	v_fma_f32 v124, v12, v6, v124                              // 000000005E44: D1CB007C 05F20D0C
	v_fma_f32 v125, v13, v6, v125                              // 000000005E4C: D1CB007D 05F60D0D
	v_fma_f32 v126, v14, v6, v126                              // 000000005E54: D1CB007E 05FA0D0E
	v_fma_f32 v127, v15, v6, v127                              // 000000005E5C: D1CB007F 05FE0D0F
	v_mfma_f32_16x16x32_fp8_fp8 v[12:15], a[88:89], a[48:49], 0// 000000005E64: D3F3000C 1A026158
	v_mfma_f32_16x16x32_fp8_fp8 v[12:15], a[90:91], a[50:51], v[12:15]// 000000005E6C: D3F3000C 1C32655A
	buffer_load_dwordx4 a[164:167], v62, s[24:27], 0 offen offset:1024// 000000005E74: E05C1400 8086A43E
	v_mfma_f32_16x16x32_fp8_fp8 v[12:15], a[92:93], a[52:53], v[12:15]// 000000005E7C: D3F3000C 1C32695C
	v_mfma_f32_16x16x32_fp8_fp8 v[12:15], a[94:95], a[54:55], v[12:15]// 000000005E84: D3F3000C 1C326D5E
	v_fma_f32 v68, v8, v4, v68                                 // 000000005E8C: D1CB0044 05120908
	v_fma_f32 v69, v9, v4, v69                                 // 000000005E94: D1CB0045 05160909
	v_fma_f32 v70, v10, v4, v70                                // 000000005E9C: D1CB0046 051A090A
	v_fma_f32 v71, v11, v4, v71                                // 000000005EA4: D1CB0047 051E090B
	v_mul_f32_dpp v6, v24, v36 row_newbcast:1 row_mask:0xf bank_mask:0xf// 000000005EAC: 0A0C48FA FF015118
	v_mfma_f32_16x16x32_fp8_fp8 v[8:11], a[96:97], a[48:49], 0 // 000000005EB4: D3F30008 1A026160
	v_mfma_f32_16x16x32_fp8_fp8 v[8:11], a[98:99], a[50:51], v[8:11]// 000000005EBC: D3F30008 1C226562
	buffer_load_dwordx4 a[168:171], v63, s[24:27], 0 offen     // 000000005EC4: E05C1000 8086A83F
	v_mfma_f32_16x16x32_fp8_fp8 v[8:11], a[100:101], a[52:53], v[8:11]// 000000005ECC: D3F30008 1C226964
	v_mfma_f32_16x16x32_fp8_fp8 v[8:11], a[102:103], a[54:55], v[8:11]// 000000005ED4: D3F30008 1C226D66
	v_fma_f32 v88, v12, v4, v88                                // 000000005EDC: D1CB0058 0562090C
	v_fma_f32 v89, v13, v4, v89                                // 000000005EE4: D1CB0059 0566090D
	v_fma_f32 v90, v14, v4, v90                                // 000000005EEC: D1CB005A 056A090E
	v_fma_f32 v91, v15, v4, v91                                // 000000005EF4: D1CB005B 056E090F
	v_mfma_f32_16x16x32_fp8_fp8 v[12:15], a[104:105], a[48:49], 0// 000000005EFC: D3F3000C 1A026168
	v_mfma_f32_16x16x32_fp8_fp8 v[12:15], a[106:107], a[50:51], v[12:15]// 000000005F04: D3F3000C 1C32656A
	buffer_load_dwordx4 a[172:175], v63, s[24:27], 0 offen offset:1024// 000000005F0C: E05C1400 8086AC3F
	buffer_load_dword v50, s[20:23], 0 offen lds               // 000000005F14: E0511000 80050032
	s_add_u32 m0, 0x100, s50                                   // 000000005F1C: 807C32FF 00000100
	v_mfma_f32_16x16x32_fp8_fp8 v[12:15], a[108:109], a[52:53], v[12:15]// 000000005F24: D3F3000C 1C32696C
	v_mfma_f32_16x16x32_fp8_fp8 v[12:15], a[110:111], a[54:55], v[12:15]// 000000005F2C: D3F3000C 1C326D6E
	buffer_load_dword v51, s[20:23], 0 offen lds               // 000000005F34: E0511000 80050033
	s_add_u32 m0, 0x200, s50                                   // 000000005F3C: 807C32FF 00000200
	v_fma_f32 v108, v8, v6, v108                               // 000000005F44: D1CB006C 05B20D08
	v_fma_f32 v109, v9, v6, v109                               // 000000005F4C: D1CB006D 05B60D09
	v_fma_f32 v110, v10, v6, v110                              // 000000005F54: D1CB006E 05BA0D0A
	v_fma_f32 v111, v11, v6, v111                              // 000000005F5C: D1CB006F 05BE0D0B
	v_mul_f32_dpp v4, v24, v37 row_newbcast:0 row_mask:0xf bank_mask:0xf// 000000005F64: 0A084AFA FF015018
	v_mfma_f32_16x16x32_fp8_fp8 v[8:11], a[80:81], a[56:57], 0 // 000000005F6C: D3F30008 1A027150
	v_mfma_f32_16x16x32_fp8_fp8 v[8:11], a[82:83], a[58:59], v[8:11]// 000000005F74: D3F30008 1C227552
	buffer_load_dword v52, s[20:23], 0 offen lds               // 000000005F7C: E0511000 80050034
	s_add_u32 m0, 0x300, s50                                   // 000000005F84: 807C32FF 00000300
	v_mfma_f32_16x16x32_fp8_fp8 v[8:11], a[84:85], a[60:61], v[8:11]// 000000005F8C: D3F30008 1C227954
	v_mfma_f32_16x16x32_fp8_fp8 v[8:11], a[86:87], a[62:63], v[8:11]// 000000005F94: D3F30008 1C227D56
	buffer_load_dword v53, s[20:23], 0 offen lds               // 000000005F9C: E0511000 80050035
	s_add_u32 m0, 0x400, s50                                   // 000000005FA4: 807C32FF 00000400
	v_fma_f32 v128, v12, v6, v128                              // 000000005FAC: D1CB0080 06020D0C
	v_fma_f32 v129, v13, v6, v129                              // 000000005FB4: D1CB0081 06060D0D
	v_fma_f32 v130, v14, v6, v130                              // 000000005FBC: D1CB0082 060A0D0E
	v_fma_f32 v131, v15, v6, v131                              // 000000005FC4: D1CB0083 060E0D0F
	v_mfma_f32_16x16x32_fp8_fp8 v[12:15], a[88:89], a[56:57], 0// 000000005FCC: D3F3000C 1A027158
	v_mfma_f32_16x16x32_fp8_fp8 v[12:15], a[90:91], a[58:59], v[12:15]// 000000005FD4: D3F3000C 1C32755A
	buffer_load_dword v54, s[20:23], 0 offen lds               // 000000005FDC: E0511000 80050036
	s_add_u32 m0, 0x500, s50                                   // 000000005FE4: 807C32FF 00000500
	v_mfma_f32_16x16x32_fp8_fp8 v[12:15], a[92:93], a[60:61], v[12:15]// 000000005FEC: D3F3000C 1C32795C
	v_mfma_f32_16x16x32_fp8_fp8 v[12:15], a[94:95], a[62:63], v[12:15]// 000000005FF4: D3F3000C 1C327D5E
	buffer_load_dword v55, s[20:23], 0 offen lds               // 000000005FFC: E0511000 80050037
	s_add_u32 m0, 0x600, s50                                   // 000000006004: 807C32FF 00000600
	v_fma_f32 v72, v8, v4, v72                                 // 00000000600C: D1CB0048 05220908
	v_fma_f32 v73, v9, v4, v73                                 // 000000006014: D1CB0049 05260909
	v_fma_f32 v74, v10, v4, v74                                // 00000000601C: D1CB004A 052A090A
	v_fma_f32 v75, v11, v4, v75                                // 000000006024: D1CB004B 052E090B
	v_mul_f32_dpp v6, v24, v37 row_newbcast:1 row_mask:0xf bank_mask:0xf// 00000000602C: 0A0C4AFA FF015118
	v_mfma_f32_16x16x32_fp8_fp8 v[8:11], a[96:97], a[56:57], 0 // 000000006034: D3F30008 1A027160
	v_mfma_f32_16x16x32_fp8_fp8 v[8:11], a[98:99], a[58:59], v[8:11]// 00000000603C: D3F30008 1C227562
	buffer_load_dword v56, s[20:23], 0 offen lds               // 000000006044: E0511000 80050038
	s_add_u32 m0, 0x700, s50                                   // 00000000604C: 807C32FF 00000700
	v_mfma_f32_16x16x32_fp8_fp8 v[8:11], a[100:101], a[60:61], v[8:11]// 000000006054: D3F30008 1C227964
	v_mfma_f32_16x16x32_fp8_fp8 v[8:11], a[102:103], a[62:63], v[8:11]// 00000000605C: D3F30008 1C227D66
	buffer_load_dword v57, s[20:23], 0 offen lds               // 000000006064: E0511000 80050039
	s_add_u32 m0, 0x800, s50                                   // 00000000606C: 807C32FF 00000800
	v_fma_f32 v92, v12, v4, v92                                // 000000006074: D1CB005C 0572090C
	v_fma_f32 v93, v13, v4, v93                                // 00000000607C: D1CB005D 0576090D
	v_fma_f32 v94, v14, v4, v94                                // 000000006084: D1CB005E 057A090E
	v_fma_f32 v95, v15, v4, v95                                // 00000000608C: D1CB005F 057E090F
	v_mfma_f32_16x16x32_fp8_fp8 v[12:15], a[104:105], a[56:57], 0// 000000006094: D3F3000C 1A027168
	v_mfma_f32_16x16x32_fp8_fp8 v[12:15], a[106:107], a[58:59], v[12:15]// 00000000609C: D3F3000C 1C32756A
	buffer_load_dword v58, s[20:23], 0 offen lds               // 0000000060A4: E0511000 8005003A
	s_add_u32 m0, 0x900, s50                                   // 0000000060AC: 807C32FF 00000900
	v_mfma_f32_16x16x32_fp8_fp8 v[12:15], a[108:109], a[60:61], v[12:15]// 0000000060B4: D3F3000C 1C32796C
	v_mfma_f32_16x16x32_fp8_fp8 v[12:15], a[110:111], a[62:63], v[12:15]// 0000000060BC: D3F3000C 1C327D6E
	buffer_load_dword v59, s[20:23], 0 offen lds               // 0000000060C4: E0511000 8005003B
	s_add_u32 m0, 0, s48                                       // 0000000060CC: 807C3080
	v_fma_f32 v112, v8, v6, v112                               // 0000000060D0: D1CB0070 05C20D08
	v_fma_f32 v113, v9, v6, v113                               // 0000000060D8: D1CB0071 05C60D09
	v_fma_f32 v114, v10, v6, v114                              // 0000000060E0: D1CB0072 05CA0D0A
	v_fma_f32 v115, v11, v6, v115                              // 0000000060E8: D1CB0073 05CE0D0B
	v_mul_f32_dpp v4, v24, v38 row_newbcast:0 row_mask:0xf bank_mask:0xf// 0000000060F0: 0A084CFA FF015018
	v_mfma_f32_16x16x32_fp8_fp8 v[8:11], a[80:81], a[64:65], 0 // 0000000060F8: D3F30008 1A028150
	v_mfma_f32_16x16x32_fp8_fp8 v[8:11], a[82:83], a[66:67], v[8:11]// 000000006100: D3F30008 1C228552
	buffer_load_dword v45, v30, s[28:31], 0 offen              // 000000006108: E0501000 80072D1E
	v_mfma_f32_16x16x32_fp8_fp8 v[8:11], a[84:85], a[68:69], v[8:11]// 000000006110: D3F30008 1C228954
	v_mfma_f32_16x16x32_fp8_fp8 v[8:11], a[86:87], a[70:71], v[8:11]// 000000006118: D3F30008 1C228D56
	buffer_load_dword v46, v31, s[28:31], 0 offen              // 000000006120: E0501000 80072E1F
	v_fma_f32 v132, v12, v6, v132                              // 000000006128: D1CB0084 06120D0C
	v_fma_f32 v133, v13, v6, v133                              // 000000006130: D1CB0085 06160D0D
	v_fma_f32 v134, v14, v6, v134                              // 000000006138: D1CB0086 061A0D0E
	v_fma_f32 v135, v15, v6, v135                              // 000000006140: D1CB0087 061E0D0F
	v_mfma_f32_16x16x32_fp8_fp8 v[12:15], a[88:89], a[64:65], 0// 000000006148: D3F3000C 1A028158
	v_mfma_f32_16x16x32_fp8_fp8 v[12:15], a[90:91], a[66:67], v[12:15]// 000000006150: D3F3000C 1C32855A
	buffer_load_dword v47, v32, s[28:31], 0 offen              // 000000006158: E0501000 80072F20
	v_mfma_f32_16x16x32_fp8_fp8 v[12:15], a[92:93], a[68:69], v[12:15]// 000000006160: D3F3000C 1C32895C
	v_mfma_f32_16x16x32_fp8_fp8 v[12:15], a[94:95], a[70:71], v[12:15]// 000000006168: D3F3000C 1C328D5E
	buffer_load_dword v48, v33, s[28:31], 0 offen              // 000000006170: E0501000 80073021
	v_fma_f32 v76, v8, v4, v76                                 // 000000006178: D1CB004C 05320908
	v_fma_f32 v77, v9, v4, v77                                 // 000000006180: D1CB004D 05360909
	v_fma_f32 v78, v10, v4, v78                                // 000000006188: D1CB004E 053A090A
	v_fma_f32 v79, v11, v4, v79                                // 000000006190: D1CB004F 053E090B
	v_mul_f32_dpp v6, v24, v38 row_newbcast:1 row_mask:0xf bank_mask:0xf// 000000006198: 0A0C4CFA FF015118
	v_mfma_f32_16x16x32_fp8_fp8 v[8:11], a[96:97], a[64:65], 0 // 0000000061A0: D3F30008 1A028160
	v_mfma_f32_16x16x32_fp8_fp8 v[8:11], a[98:99], a[66:67], v[8:11]// 0000000061A8: D3F30008 1C228562
	buffer_load_dword v49, v34, s[28:31], 0 offen              // 0000000061B0: E0501000 80073122
	v_mfma_f32_16x16x32_fp8_fp8 v[8:11], a[100:101], a[68:69], v[8:11]// 0000000061B8: D3F30008 1C228964
	v_mfma_f32_16x16x32_fp8_fp8 v[8:11], a[102:103], a[70:71], v[8:11]// 0000000061C0: D3F30008 1C228D66
	v_fma_f32 v96, v12, v4, v96                                // 0000000061C8: D1CB0060 0582090C
	v_fma_f32 v97, v13, v4, v97                                // 0000000061D0: D1CB0061 0586090D
	v_fma_f32 v98, v14, v4, v98                                // 0000000061D8: D1CB0062 058A090E
	v_fma_f32 v99, v15, v4, v99                                // 0000000061E0: D1CB0063 058E090F
	v_mfma_f32_16x16x32_fp8_fp8 v[12:15], a[104:105], a[64:65], 0// 0000000061E8: D3F3000C 1A028168
	v_mfma_f32_16x16x32_fp8_fp8 v[12:15], a[106:107], a[66:67], v[12:15]// 0000000061F0: D3F3000C 1C32856A
	v_mfma_f32_16x16x32_fp8_fp8 v[12:15], a[108:109], a[68:69], v[12:15]// 0000000061F8: D3F3000C 1C32896C
	v_mfma_f32_16x16x32_fp8_fp8 v[12:15], a[110:111], a[70:71], v[12:15]// 000000006200: D3F3000C 1C328D6E
	v_fma_f32 v116, v8, v6, v116                               // 000000006208: D1CB0074 05D20D08
	v_fma_f32 v117, v9, v6, v117                               // 000000006210: D1CB0075 05D60D09
	v_fma_f32 v118, v10, v6, v118                              // 000000006218: D1CB0076 05DA0D0A
	v_fma_f32 v119, v11, v6, v119                              // 000000006220: D1CB0077 05DE0D0B
	v_mul_f32_dpp v4, v24, v39 row_newbcast:0 row_mask:0xf bank_mask:0xf// 000000006228: 0A084EFA FF015018
	v_mfma_f32_16x16x32_fp8_fp8 v[8:11], a[80:81], a[72:73], 0 // 000000006230: D3F30008 1A029150
	v_mfma_f32_16x16x32_fp8_fp8 v[8:11], a[82:83], a[74:75], v[8:11]// 000000006238: D3F30008 1C229552
	v_mfma_f32_16x16x32_fp8_fp8 v[8:11], a[84:85], a[76:77], v[8:11]// 000000006240: D3F30008 1C229954
	v_mfma_f32_16x16x32_fp8_fp8 v[8:11], a[86:87], a[78:79], v[8:11]// 000000006248: D3F30008 1C229D56
	v_fma_f32 v136, v12, v6, v136                              // 000000006250: D1CB0088 06220D0C
	v_fma_f32 v137, v13, v6, v137                              // 000000006258: D1CB0089 06260D0D
	v_fma_f32 v138, v14, v6, v138                              // 000000006260: D1CB008A 062A0D0E
	v_fma_f32 v139, v15, v6, v139                              // 000000006268: D1CB008B 062E0D0F
	v_mfma_f32_16x16x32_fp8_fp8 v[12:15], a[88:89], a[72:73], 0// 000000006270: D3F3000C 1A029158
	v_mfma_f32_16x16x32_fp8_fp8 v[12:15], a[90:91], a[74:75], v[12:15]// 000000006278: D3F3000C 1C32955A
	v_mfma_f32_16x16x32_fp8_fp8 v[12:15], a[92:93], a[76:77], v[12:15]// 000000006280: D3F3000C 1C32995C
	v_mfma_f32_16x16x32_fp8_fp8 v[12:15], a[94:95], a[78:79], v[12:15]// 000000006288: D3F3000C 1C329D5E
	v_fma_f32 v80, v8, v4, v80                                 // 000000006290: D1CB0050 05420908
	v_fma_f32 v81, v9, v4, v81                                 // 000000006298: D1CB0051 05460909
	v_fma_f32 v82, v10, v4, v82                                // 0000000062A0: D1CB0052 054A090A
	v_fma_f32 v83, v11, v4, v83                                // 0000000062A8: D1CB0053 054E090B
	v_mul_f32_dpp v6, v24, v39 row_newbcast:1 row_mask:0xf bank_mask:0xf// 0000000062B0: 0A0C4EFA FF015118
	v_mfma_f32_16x16x32_fp8_fp8 v[8:11], a[96:97], a[72:73], 0 // 0000000062B8: D3F30008 1A029160
	v_mfma_f32_16x16x32_fp8_fp8 v[8:11], a[98:99], a[74:75], v[8:11]// 0000000062C0: D3F30008 1C229562
	v_mfma_f32_16x16x32_fp8_fp8 v[8:11], a[100:101], a[76:77], v[8:11]// 0000000062C8: D3F30008 1C229964
	v_mfma_f32_16x16x32_fp8_fp8 v[8:11], a[102:103], a[78:79], v[8:11]// 0000000062D0: D3F30008 1C229D66
	v_fma_f32 v100, v12, v4, v100                              // 0000000062D8: D1CB0064 0592090C
	v_fma_f32 v101, v13, v4, v101                              // 0000000062E0: D1CB0065 0596090D
	v_fma_f32 v102, v14, v4, v102                              // 0000000062E8: D1CB0066 059A090E
	v_fma_f32 v103, v15, v4, v103                              // 0000000062F0: D1CB0067 059E090F
	v_mfma_f32_16x16x32_fp8_fp8 v[12:15], a[104:105], a[72:73], 0// 0000000062F8: D3F3000C 1A029168
	v_mfma_f32_16x16x32_fp8_fp8 v[12:15], a[106:107], a[74:75], v[12:15]// 000000006300: D3F3000C 1C32956A
	v_mfma_f32_16x16x32_fp8_fp8 v[12:15], a[108:109], a[76:77], v[12:15]// 000000006308: D3F3000C 1C32996C
	v_mfma_f32_16x16x32_fp8_fp8 v[12:15], a[110:111], a[78:79], v[12:15]// 000000006310: D3F3000C 1C329D6E
	v_fma_f32 v120, v8, v6, v120                               // 000000006318: D1CB0078 05E20D08
	v_fma_f32 v121, v9, v6, v121                               // 000000006320: D1CB0079 05E60D09
	v_fma_f32 v122, v10, v6, v122                              // 000000006328: D1CB007A 05EA0D0A
	v_fma_f32 v123, v11, v6, v123                              // 000000006330: D1CB007B 05EE0D0B
	v_fma_f32 v140, v12, v6, v140                              // 000000006338: D1CB008C 06320D0C
	v_fma_f32 v141, v13, v6, v141                              // 000000006340: D1CB008D 06360D0D
	v_fma_f32 v142, v14, v6, v142                              // 000000006348: D1CB008E 063A0D0E
	v_fma_f32 v143, v15, v6, v143                              // 000000006350: D1CB008F 063E0D0F
	s_waitcnt vmcnt(24)                                        // 000000006358: BF8C4F78
	s_barrier                                                  // 00000000635C: BF8A0000
	v_mul_f32_dpp v4, v27, v35 row_newbcast:0 row_mask:0xf bank_mask:0xf// 000000006360: 0A0846FA FF01501B
	v_mfma_f32_16x16x32_fp8_fp8 v[8:11], a[112:113], a[40:41], 0// 000000006368: D3F30008 1A025170
	buffer_load_dword v28, v23, s[32:35], 0 offen              // 000000006370: E0501000 80081C17
	v_mfma_f32_16x16x32_fp8_fp8 v[8:11], a[114:115], a[42:43], v[8:11]// 000000006378: D3F30008 1C225572
	buffer_load_dwordx4 a[80:83], v60, s[84:87], 0 offen       // 000000006380: E05C1000 8095503C
	v_mfma_f32_16x16x32_fp8_fp8 v[8:11], a[116:117], a[44:45], v[8:11]// 000000006388: D3F30008 1C225974
	v_mfma_f32_16x16x32_fp8_fp8 v[8:11], a[118:119], a[46:47], v[8:11]// 000000006390: D3F30008 1C225D76
	ds_read_b128 a[0:3], v2 offset:10368                       // 000000006398: DBFE2880 00000002
	ds_read_b128 a[4:7], v2 offset:10432                       // 0000000063A0: DBFE28C0 04000002
	v_mfma_f32_16x16x32_fp8_fp8 v[12:15], a[120:121], a[40:41], 0// 0000000063A8: D3F3000C 1A025178
	v_mfma_f32_16x16x32_fp8_fp8 v[12:15], a[122:123], a[42:43], v[12:15]// 0000000063B0: D3F3000C 1C32557A
	buffer_load_dwordx4 a[84:87], v60, s[84:87], 0 offen offset:1024// 0000000063B8: E05C1400 8095543C
	v_mfma_f32_16x16x32_fp8_fp8 v[12:15], a[124:125], a[44:45], v[12:15]// 0000000063C0: D3F3000C 1C32597C
	v_mfma_f32_16x16x32_fp8_fp8 v[12:15], a[126:127], a[46:47], v[12:15]// 0000000063C8: D3F3000C 1C325D7E
	ds_read_b128 a[8:11], v2 offset:10880                      // 0000000063D0: DBFE2A80 08000002
	ds_read_b128 a[12:15], v2 offset:10944                     // 0000000063D8: DBFE2AC0 0C000002
	v_fma_f32 v144, v8, v4, v144                               // 0000000063E0: D1CB0090 06420908
	v_fma_f32 v145, v9, v4, v145                               // 0000000063E8: D1CB0091 06460909
	v_fma_f32 v146, v10, v4, v146                              // 0000000063F0: D1CB0092 064A090A
	v_fma_f32 v147, v11, v4, v147                              // 0000000063F8: D1CB0093 064E090B
	v_mul_f32_dpp v6, v27, v35 row_newbcast:1 row_mask:0xf bank_mask:0xf// 000000006400: 0A0C46FA FF01511B
	v_mfma_f32_16x16x32_fp8_fp8 v[8:11], a[128:129], a[40:41], 0// 000000006408: D3F30008 1A025180
	v_mfma_f32_16x16x32_fp8_fp8 v[8:11], a[130:131], a[42:43], v[8:11]// 000000006410: D3F30008 1C225582
	buffer_load_dwordx4 a[88:91], v61, s[84:87], 0 offen       // 000000006418: E05C1000 8095583D
	v_mfma_f32_16x16x32_fp8_fp8 v[8:11], a[132:133], a[44:45], v[8:11]// 000000006420: D3F30008 1C225984
	v_mfma_f32_16x16x32_fp8_fp8 v[8:11], a[134:135], a[46:47], v[8:11]// 000000006428: D3F30008 1C225D86
	ds_read_b128 a[16:19], v2 offset:11392                     // 000000006430: DBFE2C80 10000002
	ds_read_b128 a[20:23], v2 offset:11456                     // 000000006438: DBFE2CC0 14000002
	v_fma_f32 v164, v12, v4, v164                              // 000000006440: D1CB00A4 0692090C
	v_fma_f32 v165, v13, v4, v165                              // 000000006448: D1CB00A5 0696090D
	v_fma_f32 v166, v14, v4, v166                              // 000000006450: D1CB00A6 069A090E
	v_fma_f32 v167, v15, v4, v167                              // 000000006458: D1CB00A7 069E090F
	v_mfma_f32_16x16x32_fp8_fp8 v[12:15], a[136:137], a[40:41], 0// 000000006460: D3F3000C 1A025188
	v_mfma_f32_16x16x32_fp8_fp8 v[12:15], a[138:139], a[42:43], v[12:15]// 000000006468: D3F3000C 1C32558A
	buffer_load_dwordx4 a[92:95], v61, s[84:87], 0 offen offset:1024// 000000006470: E05C1400 80955C3D
	v_mfma_f32_16x16x32_fp8_fp8 v[12:15], a[140:141], a[44:45], v[12:15]// 000000006478: D3F3000C 1C32598C
	v_mfma_f32_16x16x32_fp8_fp8 v[12:15], a[142:143], a[46:47], v[12:15]// 000000006480: D3F3000C 1C325D8E
	ds_read_b128 a[24:27], v2 offset:11904                     // 000000006488: DBFE2E80 18000002
	ds_read_b128 a[28:31], v2 offset:11968                     // 000000006490: DBFE2EC0 1C000002
	v_fma_f32 v184, v8, v6, v184                               // 000000006498: D1CB00B8 06E20D08
	v_fma_f32 v185, v9, v6, v185                               // 0000000064A0: D1CB00B9 06E60D09
	v_fma_f32 v186, v10, v6, v186                              // 0000000064A8: D1CB00BA 06EA0D0A
	v_fma_f32 v187, v11, v6, v187                              // 0000000064B0: D1CB00BB 06EE0D0B
	v_mul_f32_dpp v4, v27, v36 row_newbcast:0 row_mask:0xf bank_mask:0xf// 0000000064B8: 0A0848FA FF01501B
	v_mfma_f32_16x16x32_fp8_fp8 v[8:11], a[112:113], a[48:49], 0// 0000000064C0: D3F30008 1A026170
	v_mfma_f32_16x16x32_fp8_fp8 v[8:11], a[114:115], a[50:51], v[8:11]// 0000000064C8: D3F30008 1C226572
	buffer_load_dwordx4 a[96:99], v62, s[84:87], 0 offen       // 0000000064D0: E05C1000 8095603E
	v_mfma_f32_16x16x32_fp8_fp8 v[8:11], a[116:117], a[52:53], v[8:11]// 0000000064D8: D3F30008 1C226974
	v_mfma_f32_16x16x32_fp8_fp8 v[8:11], a[118:119], a[54:55], v[8:11]// 0000000064E0: D3F30008 1C226D76
	ds_read_b128 a[32:35], v2 offset:12416                     // 0000000064E8: DBFE3080 20000002
	ds_read_b128 a[36:39], v2 offset:12480                     // 0000000064F0: DBFE30C0 24000002
	v_fma_f32 v204, v12, v6, v204                              // 0000000064F8: D1CB00CC 07320D0C
	v_fma_f32 v205, v13, v6, v205                              // 000000006500: D1CB00CD 07360D0D
	v_fma_f32 v206, v14, v6, v206                              // 000000006508: D1CB00CE 073A0D0E
	v_fma_f32 v207, v15, v6, v207                              // 000000006510: D1CB00CF 073E0D0F
	v_mfma_f32_16x16x32_fp8_fp8 v[12:15], a[120:121], a[48:49], 0// 000000006518: D3F3000C 1A026178
	v_mfma_f32_16x16x32_fp8_fp8 v[12:15], a[122:123], a[50:51], v[12:15]// 000000006520: D3F3000C 1C32657A
	buffer_load_dwordx4 a[100:103], v62, s[84:87], 0 offen offset:1024// 000000006528: E05C1400 8095643E
	v_mfma_f32_16x16x32_fp8_fp8 v[12:15], a[124:125], a[52:53], v[12:15]// 000000006530: D3F3000C 1C32697C
	v_mfma_f32_16x16x32_fp8_fp8 v[12:15], a[126:127], a[54:55], v[12:15]// 000000006538: D3F3000C 1C326D7E
	v_fma_f32 v148, v8, v4, v148                               // 000000006540: D1CB0094 06520908
	v_fma_f32 v149, v9, v4, v149                               // 000000006548: D1CB0095 06560909
	v_fma_f32 v150, v10, v4, v150                              // 000000006550: D1CB0096 065A090A
	v_fma_f32 v151, v11, v4, v151                              // 000000006558: D1CB0097 065E090B
	v_mul_f32_dpp v6, v27, v36 row_newbcast:1 row_mask:0xf bank_mask:0xf// 000000006560: 0A0C48FA FF01511B
	v_mfma_f32_16x16x32_fp8_fp8 v[8:11], a[128:129], a[48:49], 0// 000000006568: D3F30008 1A026180
	v_mfma_f32_16x16x32_fp8_fp8 v[8:11], a[130:131], a[50:51], v[8:11]// 000000006570: D3F30008 1C226582
	buffer_load_dwordx4 a[104:107], v63, s[84:87], 0 offen     // 000000006578: E05C1000 8095683F
	v_mfma_f32_16x16x32_fp8_fp8 v[8:11], a[132:133], a[52:53], v[8:11]// 000000006580: D3F30008 1C226984
	v_mfma_f32_16x16x32_fp8_fp8 v[8:11], a[134:135], a[54:55], v[8:11]// 000000006588: D3F30008 1C226D86
	v_fma_f32 v168, v12, v4, v168                              // 000000006590: D1CB00A8 06A2090C
	v_fma_f32 v169, v13, v4, v169                              // 000000006598: D1CB00A9 06A6090D
	v_fma_f32 v170, v14, v4, v170                              // 0000000065A0: D1CB00AA 06AA090E
	v_fma_f32 v171, v15, v4, v171                              // 0000000065A8: D1CB00AB 06AE090F
	v_mfma_f32_16x16x32_fp8_fp8 v[12:15], a[136:137], a[48:49], 0// 0000000065B0: D3F3000C 1A026188
	v_mfma_f32_16x16x32_fp8_fp8 v[12:15], a[138:139], a[50:51], v[12:15]// 0000000065B8: D3F3000C 1C32658A
	buffer_load_dwordx4 a[108:111], v63, s[84:87], 0 offen offset:1024// 0000000065C0: E05C1400 80956C3F
	v_mfma_f32_16x16x32_fp8_fp8 v[12:15], a[140:141], a[52:53], v[12:15]// 0000000065C8: D3F3000C 1C32698C
	v_mfma_f32_16x16x32_fp8_fp8 v[12:15], a[142:143], a[54:55], v[12:15]// 0000000065D0: D3F3000C 1C326D8E
	v_fma_f32 v188, v8, v6, v188                               // 0000000065D8: D1CB00BC 06F20D08
	v_fma_f32 v189, v9, v6, v189                               // 0000000065E0: D1CB00BD 06F60D09
	v_fma_f32 v190, v10, v6, v190                              // 0000000065E8: D1CB00BE 06FA0D0A
	v_fma_f32 v191, v11, v6, v191                              // 0000000065F0: D1CB00BF 06FE0D0B
	v_mul_f32_dpp v4, v27, v37 row_newbcast:0 row_mask:0xf bank_mask:0xf// 0000000065F8: 0A084AFA FF01501B
	v_mfma_f32_16x16x32_fp8_fp8 v[8:11], a[112:113], a[56:57], 0// 000000006600: D3F30008 1A027170
	v_mfma_f32_16x16x32_fp8_fp8 v[8:11], a[114:115], a[58:59], v[8:11]// 000000006608: D3F30008 1C227572
	v_mfma_f32_16x16x32_fp8_fp8 v[8:11], a[116:117], a[60:61], v[8:11]// 000000006610: D3F30008 1C227974
	v_mfma_f32_16x16x32_fp8_fp8 v[8:11], a[118:119], a[62:63], v[8:11]// 000000006618: D3F30008 1C227D76
	v_fma_f32 v208, v12, v6, v208                              // 000000006620: D1CB00D0 07420D0C
	v_fma_f32 v209, v13, v6, v209                              // 000000006628: D1CB00D1 07460D0D
	v_fma_f32 v210, v14, v6, v210                              // 000000006630: D1CB00D2 074A0D0E
	v_fma_f32 v211, v15, v6, v211                              // 000000006638: D1CB00D3 074E0D0F
	v_mfma_f32_16x16x32_fp8_fp8 v[12:15], a[120:121], a[56:57], 0// 000000006640: D3F3000C 1A027178
	v_mfma_f32_16x16x32_fp8_fp8 v[12:15], a[122:123], a[58:59], v[12:15]// 000000006648: D3F3000C 1C32757A
	v_mfma_f32_16x16x32_fp8_fp8 v[12:15], a[124:125], a[60:61], v[12:15]// 000000006650: D3F3000C 1C32797C
	v_mfma_f32_16x16x32_fp8_fp8 v[12:15], a[126:127], a[62:63], v[12:15]// 000000006658: D3F3000C 1C327D7E
	v_fma_f32 v152, v8, v4, v152                               // 000000006660: D1CB0098 06620908
	v_fma_f32 v153, v9, v4, v153                               // 000000006668: D1CB0099 06660909
	v_fma_f32 v154, v10, v4, v154                              // 000000006670: D1CB009A 066A090A
	v_fma_f32 v155, v11, v4, v155                              // 000000006678: D1CB009B 066E090B
	v_mul_f32_dpp v6, v27, v37 row_newbcast:1 row_mask:0xf bank_mask:0xf// 000000006680: 0A0C4AFA FF01511B
	v_mfma_f32_16x16x32_fp8_fp8 v[8:11], a[128:129], a[56:57], 0// 000000006688: D3F30008 1A027180
	v_mfma_f32_16x16x32_fp8_fp8 v[8:11], a[130:131], a[58:59], v[8:11]// 000000006690: D3F30008 1C227582
	v_mfma_f32_16x16x32_fp8_fp8 v[8:11], a[132:133], a[60:61], v[8:11]// 000000006698: D3F30008 1C227984
	v_mfma_f32_16x16x32_fp8_fp8 v[8:11], a[134:135], a[62:63], v[8:11]// 0000000066A0: D3F30008 1C227D86
	v_fma_f32 v172, v12, v4, v172                              // 0000000066A8: D1CB00AC 06B2090C
	v_fma_f32 v173, v13, v4, v173                              // 0000000066B0: D1CB00AD 06B6090D
	v_fma_f32 v174, v14, v4, v174                              // 0000000066B8: D1CB00AE 06BA090E
	v_fma_f32 v175, v15, v4, v175                              // 0000000066C0: D1CB00AF 06BE090F
	v_mfma_f32_16x16x32_fp8_fp8 v[12:15], a[136:137], a[56:57], 0// 0000000066C8: D3F3000C 1A027188
	v_mfma_f32_16x16x32_fp8_fp8 v[12:15], a[138:139], a[58:59], v[12:15]// 0000000066D0: D3F3000C 1C32758A
	v_mfma_f32_16x16x32_fp8_fp8 v[12:15], a[140:141], a[60:61], v[12:15]// 0000000066D8: D3F3000C 1C32798C
	v_mfma_f32_16x16x32_fp8_fp8 v[12:15], a[142:143], a[62:63], v[12:15]// 0000000066E0: D3F3000C 1C327D8E
	v_fma_f32 v192, v8, v6, v192                               // 0000000066E8: D1CB00C0 07020D08
	v_fma_f32 v193, v9, v6, v193                               // 0000000066F0: D1CB00C1 07060D09
	v_fma_f32 v194, v10, v6, v194                              // 0000000066F8: D1CB00C2 070A0D0A
	v_fma_f32 v195, v11, v6, v195                              // 000000006700: D1CB00C3 070E0D0B
	v_mul_f32_dpp v4, v27, v38 row_newbcast:0 row_mask:0xf bank_mask:0xf// 000000006708: 0A084CFA FF01501B
	v_mfma_f32_16x16x32_fp8_fp8 v[8:11], a[112:113], a[64:65], 0// 000000006710: D3F30008 1A028170
	v_mfma_f32_16x16x32_fp8_fp8 v[8:11], a[114:115], a[66:67], v[8:11]// 000000006718: D3F30008 1C228572
	v_mfma_f32_16x16x32_fp8_fp8 v[8:11], a[116:117], a[68:69], v[8:11]// 000000006720: D3F30008 1C228974
	v_mfma_f32_16x16x32_fp8_fp8 v[8:11], a[118:119], a[70:71], v[8:11]// 000000006728: D3F30008 1C228D76
	v_fma_f32 v212, v12, v6, v212                              // 000000006730: D1CB00D4 07520D0C
	v_fma_f32 v213, v13, v6, v213                              // 000000006738: D1CB00D5 07560D0D
	v_fma_f32 v214, v14, v6, v214                              // 000000006740: D1CB00D6 075A0D0E
	v_fma_f32 v215, v15, v6, v215                              // 000000006748: D1CB00D7 075E0D0F
	v_mfma_f32_16x16x32_fp8_fp8 v[12:15], a[120:121], a[64:65], 0// 000000006750: D3F3000C 1A028178
	v_mfma_f32_16x16x32_fp8_fp8 v[12:15], a[122:123], a[66:67], v[12:15]// 000000006758: D3F3000C 1C32857A
	v_mfma_f32_16x16x32_fp8_fp8 v[12:15], a[124:125], a[68:69], v[12:15]// 000000006760: D3F3000C 1C32897C
	v_mfma_f32_16x16x32_fp8_fp8 v[12:15], a[126:127], a[70:71], v[12:15]// 000000006768: D3F3000C 1C328D7E
	v_fma_f32 v156, v8, v4, v156                               // 000000006770: D1CB009C 06720908
	v_fma_f32 v157, v9, v4, v157                               // 000000006778: D1CB009D 06760909
	v_fma_f32 v158, v10, v4, v158                              // 000000006780: D1CB009E 067A090A
	v_fma_f32 v159, v11, v4, v159                              // 000000006788: D1CB009F 067E090B
	v_mul_f32_dpp v6, v27, v38 row_newbcast:1 row_mask:0xf bank_mask:0xf// 000000006790: 0A0C4CFA FF01511B
	v_mfma_f32_16x16x32_fp8_fp8 v[8:11], a[128:129], a[64:65], 0// 000000006798: D3F30008 1A028180
	v_mfma_f32_16x16x32_fp8_fp8 v[8:11], a[130:131], a[66:67], v[8:11]// 0000000067A0: D3F30008 1C228582
	v_mfma_f32_16x16x32_fp8_fp8 v[8:11], a[132:133], a[68:69], v[8:11]// 0000000067A8: D3F30008 1C228984
	v_mfma_f32_16x16x32_fp8_fp8 v[8:11], a[134:135], a[70:71], v[8:11]// 0000000067B0: D3F30008 1C228D86
	v_fma_f32 v176, v12, v4, v176                              // 0000000067B8: D1CB00B0 06C2090C
	v_fma_f32 v177, v13, v4, v177                              // 0000000067C0: D1CB00B1 06C6090D
	v_fma_f32 v178, v14, v4, v178                              // 0000000067C8: D1CB00B2 06CA090E
	v_fma_f32 v179, v15, v4, v179                              // 0000000067D0: D1CB00B3 06CE090F
	v_mfma_f32_16x16x32_fp8_fp8 v[12:15], a[136:137], a[64:65], 0// 0000000067D8: D3F3000C 1A028188
	v_mfma_f32_16x16x32_fp8_fp8 v[12:15], a[138:139], a[66:67], v[12:15]// 0000000067E0: D3F3000C 1C32858A
	v_mfma_f32_16x16x32_fp8_fp8 v[12:15], a[140:141], a[68:69], v[12:15]// 0000000067E8: D3F3000C 1C32898C
	v_mfma_f32_16x16x32_fp8_fp8 v[12:15], a[142:143], a[70:71], v[12:15]// 0000000067F0: D3F3000C 1C328D8E
	v_fma_f32 v196, v8, v6, v196                               // 0000000067F8: D1CB00C4 07120D08
	v_fma_f32 v197, v9, v6, v197                               // 000000006800: D1CB00C5 07160D09
	v_fma_f32 v198, v10, v6, v198                              // 000000006808: D1CB00C6 071A0D0A
	v_fma_f32 v199, v11, v6, v199                              // 000000006810: D1CB00C7 071E0D0B
	v_mul_f32_dpp v4, v27, v39 row_newbcast:0 row_mask:0xf bank_mask:0xf// 000000006818: 0A084EFA FF01501B
	v_mfma_f32_16x16x32_fp8_fp8 v[8:11], a[112:113], a[72:73], 0// 000000006820: D3F30008 1A029170
	v_mfma_f32_16x16x32_fp8_fp8 v[8:11], a[114:115], a[74:75], v[8:11]// 000000006828: D3F30008 1C229572
	v_mfma_f32_16x16x32_fp8_fp8 v[8:11], a[116:117], a[76:77], v[8:11]// 000000006830: D3F30008 1C229974
	v_mfma_f32_16x16x32_fp8_fp8 v[8:11], a[118:119], a[78:79], v[8:11]// 000000006838: D3F30008 1C229D76
	v_fma_f32 v216, v12, v6, v216                              // 000000006840: D1CB00D8 07620D0C
	v_fma_f32 v217, v13, v6, v217                              // 000000006848: D1CB00D9 07660D0D
	v_fma_f32 v218, v14, v6, v218                              // 000000006850: D1CB00DA 076A0D0E
	v_fma_f32 v219, v15, v6, v219                              // 000000006858: D1CB00DB 076E0D0F
	v_mfma_f32_16x16x32_fp8_fp8 v[12:15], a[120:121], a[72:73], 0// 000000006860: D3F3000C 1A029178
	v_mfma_f32_16x16x32_fp8_fp8 v[12:15], a[122:123], a[74:75], v[12:15]// 000000006868: D3F3000C 1C32957A
	v_mfma_f32_16x16x32_fp8_fp8 v[12:15], a[124:125], a[76:77], v[12:15]// 000000006870: D3F3000C 1C32997C
	v_mfma_f32_16x16x32_fp8_fp8 v[12:15], a[126:127], a[78:79], v[12:15]// 000000006878: D3F3000C 1C329D7E
	v_fma_f32 v160, v8, v4, v160                               // 000000006880: D1CB00A0 06820908
	v_fma_f32 v161, v9, v4, v161                               // 000000006888: D1CB00A1 06860909
	v_fma_f32 v162, v10, v4, v162                              // 000000006890: D1CB00A2 068A090A
	v_fma_f32 v163, v11, v4, v163                              // 000000006898: D1CB00A3 068E090B
	v_mul_f32_dpp v6, v27, v39 row_newbcast:1 row_mask:0xf bank_mask:0xf// 0000000068A0: 0A0C4EFA FF01511B
	v_mfma_f32_16x16x32_fp8_fp8 v[8:11], a[128:129], a[72:73], 0// 0000000068A8: D3F30008 1A029180
	s_add_u32 s60, 0x180, s80                                  // 0000000068B0: 803C50FF 00000180
	s_cmp_lt_u32 s60, s81                                      // 0000000068B8: BF0A513C
	s_cselect_b32 s57, s57, 0                                  // 0000000068BC: 85398039
	s_cselect_b32 s3, s3, 0                                    // 0000000068C0: 85038003
	v_mfma_f32_16x16x32_fp8_fp8 v[8:11], a[130:131], a[74:75], v[8:11]// 0000000068C4: D3F30008 1C229582
	s_add_u32 s60, 0x100, s80                                  // 0000000068CC: 803C50FF 00000100
	s_cmp_lt_u32 s60, s81                                      // 0000000068D4: BF0A513C
	s_cselect_b32 s58, s58, 0                                  // 0000000068D8: 853A803A
	v_mfma_f32_16x16x32_fp8_fp8 v[8:11], a[132:133], a[76:77], v[8:11]// 0000000068DC: D3F30008 1C229984
	s_add_u32 s60, 0x100, s80                                  // 0000000068E4: 803C50FF 00000100
	s_cmp_lt_u32 s60, s81                                      // 0000000068EC: BF0A513C
	s_cselect_b32 s83, s83, 0                                  // 0000000068F0: 85538053
	s_cselect_b32 s4, s4, 0                                    // 0000000068F4: 85048004
	v_mfma_f32_16x16x32_fp8_fp8 v[8:11], a[134:135], a[78:79], v[8:11]// 0000000068F8: D3F30008 1C229D86
	s_add_u32 s24, s58, s24                                    // 000000006900: 8018183A
	s_addc_u32 s25, 0, s25                                     // 000000006904: 82191980
	v_fma_f32 v180, v12, v4, v180                              // 000000006908: D1CB00B4 06D2090C
	v_fma_f32 v181, v13, v4, v181                              // 000000006910: D1CB00B5 06D6090D
	v_fma_f32 v182, v14, v4, v182                              // 000000006918: D1CB00B6 06DA090E
	v_fma_f32 v183, v15, v4, v183                              // 000000006920: D1CB00B7 06DE090F
	v_mfma_f32_16x16x32_fp8_fp8 v[12:15], a[136:137], a[72:73], 0// 000000006928: D3F3000C 1A029188
	s_add_u32 s20, s57, s20                                    // 000000006930: 80141439
	s_addc_u32 s21, 0, s21                                     // 000000006934: 82151580
	s_add_u32 s28, s3, s28                                     // 000000006938: 801C1C03
	s_addc_u32 s29, 0, s29                                     // 00000000693C: 821D1D80
	v_mfma_f32_16x16x32_fp8_fp8 v[12:15], a[138:139], a[74:75], v[12:15]// 000000006940: D3F3000C 1C32958A
	s_add_u32 s84, s83, s84                                    // 000000006948: 80545453
	s_addc_u32 s85, 0, s85                                     // 00000000694C: 82555580
	v_mfma_f32_16x16x32_fp8_fp8 v[12:15], a[140:141], a[76:77], v[12:15]// 000000006950: D3F3000C 1C32998C
	s_add_u32 s32, s4, s32                                     // 000000006958: 80202004
	s_addc_u32 s33, 0, s33                                     // 00000000695C: 82212180
	v_mfma_f32_16x16x32_fp8_fp8 v[12:15], a[142:143], a[78:79], v[12:15]// 000000006960: D3F3000C 1C329D8E
	v_fma_f32 v200, v8, v6, v200                               // 000000006968: D1CB00C8 07220D08
	v_fma_f32 v201, v9, v6, v201                               // 000000006970: D1CB00C9 07260D09
	v_fma_f32 v202, v10, v6, v202                              // 000000006978: D1CB00CA 072A0D0A
	v_fma_f32 v203, v11, v6, v203                              // 000000006980: D1CB00CB 072E0D0B
	v_fma_f32 v220, v12, v6, v220                              // 000000006988: D1CB00DC 07720D0C
	v_fma_f32 v221, v13, v6, v221                              // 000000006990: D1CB00DD 07760D0D
	v_fma_f32 v222, v14, v6, v222                              // 000000006998: D1CB00DE 077A0D0E
	v_fma_f32 v223, v15, v6, v223                              // 0000000069A0: D1CB00DF 077E0D0F
	s_addk_i32 s80, 0x80                                       // 0000000069A8: B7500080
	s_cmp_lt_i32 s80, s81                                      // 0000000069AC: BF045150
	s_cbranch_scc0 label_164C                                  // 0000000069B0: BF84065F
	s_waitcnt vmcnt(24) lgkmcnt(0)                             // 0000000069B4: BF8C4078
	v_mul_f32_dpp v4, v25, v40 row_newbcast:0 row_mask:0xf bank_mask:0xf// 0000000069B8: 0A0850FA FF015019
	v_mfma_f32_16x16x32_fp8_fp8 v[8:11], a[144:145], a[0:1], 0 // 0000000069C0: D3F30008 1A020190
	buffer_load_dword v26, v22, s[32:35], 0 offen              // 0000000069C8: E0501000 80081A16
	v_mfma_f32_16x16x32_fp8_fp8 v[8:11], a[146:147], a[2:3], v[8:11]// 0000000069D0: D3F30008 1C220592
	buffer_load_dwordx4 a[112:115], v60, s[24:27], 0 offen     // 0000000069D8: E05C1000 8086703C
	v_mfma_f32_16x16x32_fp8_fp8 v[8:11], a[148:149], a[4:5], v[8:11]// 0000000069E0: D3F30008 1C220994
	v_mfma_f32_16x16x32_fp8_fp8 v[8:11], a[150:151], a[6:7], v[8:11]// 0000000069E8: D3F30008 1C220D96
	v_mfma_f32_16x16x32_fp8_fp8 v[12:15], a[152:153], a[0:1], 0// 0000000069F0: D3F3000C 1A020198
	v_mfma_f32_16x16x32_fp8_fp8 v[12:15], a[154:155], a[2:3], v[12:15]// 0000000069F8: D3F3000C 1C32059A
	buffer_load_dwordx4 a[116:119], v60, s[24:27], 0 offen offset:1024// 000000006A00: E05C1400 8086743C
	v_mfma_f32_16x16x32_fp8_fp8 v[12:15], a[156:157], a[4:5], v[12:15]// 000000006A08: D3F3000C 1C32099C
	v_mfma_f32_16x16x32_fp8_fp8 v[12:15], a[158:159], a[6:7], v[12:15]// 000000006A10: D3F3000C 1C320D9E
	v_fma_f32 v64, v8, v4, v64                                 // 000000006A18: D1CB0040 05020908
	v_fma_f32 v65, v9, v4, v65                                 // 000000006A20: D1CB0041 05060909
	v_fma_f32 v66, v10, v4, v66                                // 000000006A28: D1CB0042 050A090A
	v_fma_f32 v67, v11, v4, v67                                // 000000006A30: D1CB0043 050E090B
	v_mul_f32_dpp v6, v25, v40 row_newbcast:1 row_mask:0xf bank_mask:0xf// 000000006A38: 0A0C50FA FF015119
	v_mfma_f32_16x16x32_fp8_fp8 v[8:11], a[160:161], a[0:1], 0 // 000000006A40: D3F30008 1A0201A0
	v_mfma_f32_16x16x32_fp8_fp8 v[8:11], a[162:163], a[2:3], v[8:11]// 000000006A48: D3F30008 1C2205A2
	buffer_load_dwordx4 a[120:123], v61, s[24:27], 0 offen     // 000000006A50: E05C1000 8086783D
	v_mfma_f32_16x16x32_fp8_fp8 v[8:11], a[164:165], a[4:5], v[8:11]// 000000006A58: D3F30008 1C2209A4
	v_mfma_f32_16x16x32_fp8_fp8 v[8:11], a[166:167], a[6:7], v[8:11]// 000000006A60: D3F30008 1C220DA6
	v_fma_f32 v84, v12, v4, v84                                // 000000006A68: D1CB0054 0552090C
	v_fma_f32 v85, v13, v4, v85                                // 000000006A70: D1CB0055 0556090D
	v_fma_f32 v86, v14, v4, v86                                // 000000006A78: D1CB0056 055A090E
	v_fma_f32 v87, v15, v4, v87                                // 000000006A80: D1CB0057 055E090F
	v_mfma_f32_16x16x32_fp8_fp8 v[12:15], a[168:169], a[0:1], 0// 000000006A88: D3F3000C 1A0201A8
	v_mfma_f32_16x16x32_fp8_fp8 v[12:15], a[170:171], a[2:3], v[12:15]// 000000006A90: D3F3000C 1C3205AA
	buffer_load_dwordx4 a[124:127], v61, s[24:27], 0 offen offset:1024// 000000006A98: E05C1400 80867C3D
	v_mfma_f32_16x16x32_fp8_fp8 v[12:15], a[172:173], a[4:5], v[12:15]// 000000006AA0: D3F3000C 1C3209AC
	v_mfma_f32_16x16x32_fp8_fp8 v[12:15], a[174:175], a[6:7], v[12:15]// 000000006AA8: D3F3000C 1C320DAE
	v_fma_f32 v104, v8, v6, v104                               // 000000006AB0: D1CB0068 05A20D08
	v_fma_f32 v105, v9, v6, v105                               // 000000006AB8: D1CB0069 05A60D09
	v_fma_f32 v106, v10, v6, v106                              // 000000006AC0: D1CB006A 05AA0D0A
	v_fma_f32 v107, v11, v6, v107                              // 000000006AC8: D1CB006B 05AE0D0B
	v_mul_f32_dpp v4, v25, v41 row_newbcast:0 row_mask:0xf bank_mask:0xf// 000000006AD0: 0A0852FA FF015019
	v_mfma_f32_16x16x32_fp8_fp8 v[8:11], a[144:145], a[8:9], 0 // 000000006AD8: D3F30008 1A021190
	v_mfma_f32_16x16x32_fp8_fp8 v[8:11], a[146:147], a[10:11], v[8:11]// 000000006AE0: D3F30008 1C221592
	buffer_load_dwordx4 a[128:131], v62, s[24:27], 0 offen     // 000000006AE8: E05C1000 8086803E
	v_mfma_f32_16x16x32_fp8_fp8 v[8:11], a[148:149], a[12:13], v[8:11]// 000000006AF0: D3F30008 1C221994
	v_mfma_f32_16x16x32_fp8_fp8 v[8:11], a[150:151], a[14:15], v[8:11]// 000000006AF8: D3F30008 1C221D96
	v_fma_f32 v124, v12, v6, v124                              // 000000006B00: D1CB007C 05F20D0C
	v_fma_f32 v125, v13, v6, v125                              // 000000006B08: D1CB007D 05F60D0D
	v_fma_f32 v126, v14, v6, v126                              // 000000006B10: D1CB007E 05FA0D0E
	v_fma_f32 v127, v15, v6, v127                              // 000000006B18: D1CB007F 05FE0D0F
	v_mfma_f32_16x16x32_fp8_fp8 v[12:15], a[152:153], a[8:9], 0// 000000006B20: D3F3000C 1A021198
	v_mfma_f32_16x16x32_fp8_fp8 v[12:15], a[154:155], a[10:11], v[12:15]// 000000006B28: D3F3000C 1C32159A
	buffer_load_dwordx4 a[132:135], v62, s[24:27], 0 offen offset:1024// 000000006B30: E05C1400 8086843E
	v_mfma_f32_16x16x32_fp8_fp8 v[12:15], a[156:157], a[12:13], v[12:15]// 000000006B38: D3F3000C 1C32199C
	v_mfma_f32_16x16x32_fp8_fp8 v[12:15], a[158:159], a[14:15], v[12:15]// 000000006B40: D3F3000C 1C321D9E
	v_fma_f32 v68, v8, v4, v68                                 // 000000006B48: D1CB0044 05120908
	v_fma_f32 v69, v9, v4, v69                                 // 000000006B50: D1CB0045 05160909
	v_fma_f32 v70, v10, v4, v70                                // 000000006B58: D1CB0046 051A090A
	v_fma_f32 v71, v11, v4, v71                                // 000000006B60: D1CB0047 051E090B
	v_mul_f32_dpp v6, v25, v41 row_newbcast:1 row_mask:0xf bank_mask:0xf// 000000006B68: 0A0C52FA FF015119
	v_mfma_f32_16x16x32_fp8_fp8 v[8:11], a[160:161], a[8:9], 0 // 000000006B70: D3F30008 1A0211A0
	v_mfma_f32_16x16x32_fp8_fp8 v[8:11], a[162:163], a[10:11], v[8:11]// 000000006B78: D3F30008 1C2215A2
	buffer_load_dwordx4 a[136:139], v63, s[24:27], 0 offen     // 000000006B80: E05C1000 8086883F
	v_mfma_f32_16x16x32_fp8_fp8 v[8:11], a[164:165], a[12:13], v[8:11]// 000000006B88: D3F30008 1C2219A4
	v_mfma_f32_16x16x32_fp8_fp8 v[8:11], a[166:167], a[14:15], v[8:11]// 000000006B90: D3F30008 1C221DA6
	v_fma_f32 v88, v12, v4, v88                                // 000000006B98: D1CB0058 0562090C
	v_fma_f32 v89, v13, v4, v89                                // 000000006BA0: D1CB0059 0566090D
	v_fma_f32 v90, v14, v4, v90                                // 000000006BA8: D1CB005A 056A090E
	v_fma_f32 v91, v15, v4, v91                                // 000000006BB0: D1CB005B 056E090F
	v_mfma_f32_16x16x32_fp8_fp8 v[12:15], a[168:169], a[8:9], 0// 000000006BB8: D3F3000C 1A0211A8
	v_mfma_f32_16x16x32_fp8_fp8 v[12:15], a[170:171], a[10:11], v[12:15]// 000000006BC0: D3F3000C 1C3215AA
	buffer_load_dwordx4 a[140:143], v63, s[24:27], 0 offen offset:1024// 000000006BC8: E05C1400 80868C3F
	buffer_load_dword v50, s[20:23], 0 offen lds               // 000000006BD0: E0511000 80050032
	s_add_u32 m0, 0x100, s48                                   // 000000006BD8: 807C30FF 00000100
	v_mfma_f32_16x16x32_fp8_fp8 v[12:15], a[172:173], a[12:13], v[12:15]// 000000006BE0: D3F3000C 1C3219AC
	v_mfma_f32_16x16x32_fp8_fp8 v[12:15], a[174:175], a[14:15], v[12:15]// 000000006BE8: D3F3000C 1C321DAE
	buffer_load_dword v51, s[20:23], 0 offen lds               // 000000006BF0: E0511000 80050033
	s_add_u32 m0, 0x200, s48                                   // 000000006BF8: 807C30FF 00000200
	v_fma_f32 v108, v8, v6, v108                               // 000000006C00: D1CB006C 05B20D08
	v_fma_f32 v109, v9, v6, v109                               // 000000006C08: D1CB006D 05B60D09
	v_fma_f32 v110, v10, v6, v110                              // 000000006C10: D1CB006E 05BA0D0A
	v_fma_f32 v111, v11, v6, v111                              // 000000006C18: D1CB006F 05BE0D0B
	v_mul_f32_dpp v4, v25, v42 row_newbcast:0 row_mask:0xf bank_mask:0xf// 000000006C20: 0A0854FA FF015019
	v_mfma_f32_16x16x32_fp8_fp8 v[8:11], a[144:145], a[16:17], 0// 000000006C28: D3F30008 1A022190
	v_mfma_f32_16x16x32_fp8_fp8 v[8:11], a[146:147], a[18:19], v[8:11]// 000000006C30: D3F30008 1C222592
	buffer_load_dword v52, s[20:23], 0 offen lds               // 000000006C38: E0511000 80050034
	s_add_u32 m0, 0x300, s48                                   // 000000006C40: 807C30FF 00000300
	v_mfma_f32_16x16x32_fp8_fp8 v[8:11], a[148:149], a[20:21], v[8:11]// 000000006C48: D3F30008 1C222994
	v_mfma_f32_16x16x32_fp8_fp8 v[8:11], a[150:151], a[22:23], v[8:11]// 000000006C50: D3F30008 1C222D96
	buffer_load_dword v53, s[20:23], 0 offen lds               // 000000006C58: E0511000 80050035
	s_add_u32 m0, 0x400, s48                                   // 000000006C60: 807C30FF 00000400
	v_fma_f32 v128, v12, v6, v128                              // 000000006C68: D1CB0080 06020D0C
	v_fma_f32 v129, v13, v6, v129                              // 000000006C70: D1CB0081 06060D0D
	v_fma_f32 v130, v14, v6, v130                              // 000000006C78: D1CB0082 060A0D0E
	v_fma_f32 v131, v15, v6, v131                              // 000000006C80: D1CB0083 060E0D0F
	v_mfma_f32_16x16x32_fp8_fp8 v[12:15], a[152:153], a[16:17], 0// 000000006C88: D3F3000C 1A022198
	v_mfma_f32_16x16x32_fp8_fp8 v[12:15], a[154:155], a[18:19], v[12:15]// 000000006C90: D3F3000C 1C32259A
	buffer_load_dword v54, s[20:23], 0 offen lds               // 000000006C98: E0511000 80050036
	s_add_u32 m0, 0x500, s48                                   // 000000006CA0: 807C30FF 00000500
	v_mfma_f32_16x16x32_fp8_fp8 v[12:15], a[156:157], a[20:21], v[12:15]// 000000006CA8: D3F3000C 1C32299C
	v_mfma_f32_16x16x32_fp8_fp8 v[12:15], a[158:159], a[22:23], v[12:15]// 000000006CB0: D3F3000C 1C322D9E
	buffer_load_dword v55, s[20:23], 0 offen lds               // 000000006CB8: E0511000 80050037
	s_add_u32 m0, 0x600, s48                                   // 000000006CC0: 807C30FF 00000600
	v_fma_f32 v72, v8, v4, v72                                 // 000000006CC8: D1CB0048 05220908
	v_fma_f32 v73, v9, v4, v73                                 // 000000006CD0: D1CB0049 05260909
	v_fma_f32 v74, v10, v4, v74                                // 000000006CD8: D1CB004A 052A090A
	v_fma_f32 v75, v11, v4, v75                                // 000000006CE0: D1CB004B 052E090B
	v_mul_f32_dpp v6, v25, v42 row_newbcast:1 row_mask:0xf bank_mask:0xf// 000000006CE8: 0A0C54FA FF015119
	v_mfma_f32_16x16x32_fp8_fp8 v[8:11], a[160:161], a[16:17], 0// 000000006CF0: D3F30008 1A0221A0
	v_mfma_f32_16x16x32_fp8_fp8 v[8:11], a[162:163], a[18:19], v[8:11]// 000000006CF8: D3F30008 1C2225A2
	buffer_load_dword v56, s[20:23], 0 offen lds               // 000000006D00: E0511000 80050038
	s_add_u32 m0, 0x700, s48                                   // 000000006D08: 807C30FF 00000700
	v_mfma_f32_16x16x32_fp8_fp8 v[8:11], a[164:165], a[20:21], v[8:11]// 000000006D10: D3F30008 1C2229A4
	v_mfma_f32_16x16x32_fp8_fp8 v[8:11], a[166:167], a[22:23], v[8:11]// 000000006D18: D3F30008 1C222DA6
	buffer_load_dword v57, s[20:23], 0 offen lds               // 000000006D20: E0511000 80050039
	s_add_u32 m0, 0x800, s48                                   // 000000006D28: 807C30FF 00000800
	v_fma_f32 v92, v12, v4, v92                                // 000000006D30: D1CB005C 0572090C
	v_fma_f32 v93, v13, v4, v93                                // 000000006D38: D1CB005D 0576090D
	v_fma_f32 v94, v14, v4, v94                                // 000000006D40: D1CB005E 057A090E
	v_fma_f32 v95, v15, v4, v95                                // 000000006D48: D1CB005F 057E090F
	v_mfma_f32_16x16x32_fp8_fp8 v[12:15], a[168:169], a[16:17], 0// 000000006D50: D3F3000C 1A0221A8
	v_mfma_f32_16x16x32_fp8_fp8 v[12:15], a[170:171], a[18:19], v[12:15]// 000000006D58: D3F3000C 1C3225AA
	buffer_load_dword v58, s[20:23], 0 offen lds               // 000000006D60: E0511000 8005003A
	s_add_u32 m0, 0x900, s48                                   // 000000006D68: 807C30FF 00000900
	v_mfma_f32_16x16x32_fp8_fp8 v[12:15], a[172:173], a[20:21], v[12:15]// 000000006D70: D3F3000C 1C3229AC
	v_mfma_f32_16x16x32_fp8_fp8 v[12:15], a[174:175], a[22:23], v[12:15]// 000000006D78: D3F3000C 1C322DAE
	buffer_load_dword v59, s[20:23], 0 offen lds               // 000000006D80: E0511000 8005003B
	s_add_u32 m0, 0, s49                                       // 000000006D88: 807C3180
	v_fma_f32 v112, v8, v6, v112                               // 000000006D8C: D1CB0070 05C20D08
	v_fma_f32 v113, v9, v6, v113                               // 000000006D94: D1CB0071 05C60D09
	v_fma_f32 v114, v10, v6, v114                              // 000000006D9C: D1CB0072 05CA0D0A
	v_fma_f32 v115, v11, v6, v115                              // 000000006DA4: D1CB0073 05CE0D0B
	v_mul_f32_dpp v4, v25, v43 row_newbcast:0 row_mask:0xf bank_mask:0xf// 000000006DAC: 0A0856FA FF015019
	v_mfma_f32_16x16x32_fp8_fp8 v[8:11], a[144:145], a[24:25], 0// 000000006DB4: D3F30008 1A023190
	v_mfma_f32_16x16x32_fp8_fp8 v[8:11], a[146:147], a[26:27], v[8:11]// 000000006DBC: D3F30008 1C223592
	buffer_load_dword v35, v30, s[28:31], 0 offen              // 000000006DC4: E0501000 8007231E
	v_mfma_f32_16x16x32_fp8_fp8 v[8:11], a[148:149], a[28:29], v[8:11]// 000000006DCC: D3F30008 1C223994
	v_mfma_f32_16x16x32_fp8_fp8 v[8:11], a[150:151], a[30:31], v[8:11]// 000000006DD4: D3F30008 1C223D96
	buffer_load_dword v36, v31, s[28:31], 0 offen              // 000000006DDC: E0501000 8007241F
	v_fma_f32 v132, v12, v6, v132                              // 000000006DE4: D1CB0084 06120D0C
	v_fma_f32 v133, v13, v6, v133                              // 000000006DEC: D1CB0085 06160D0D
	v_fma_f32 v134, v14, v6, v134                              // 000000006DF4: D1CB0086 061A0D0E
	v_fma_f32 v135, v15, v6, v135                              // 000000006DFC: D1CB0087 061E0D0F
	v_mfma_f32_16x16x32_fp8_fp8 v[12:15], a[152:153], a[24:25], 0// 000000006E04: D3F3000C 1A023198
	v_mfma_f32_16x16x32_fp8_fp8 v[12:15], a[154:155], a[26:27], v[12:15]// 000000006E0C: D3F3000C 1C32359A
	buffer_load_dword v37, v32, s[28:31], 0 offen              // 000000006E14: E0501000 80072520
	v_mfma_f32_16x16x32_fp8_fp8 v[12:15], a[156:157], a[28:29], v[12:15]// 000000006E1C: D3F3000C 1C32399C
	v_mfma_f32_16x16x32_fp8_fp8 v[12:15], a[158:159], a[30:31], v[12:15]// 000000006E24: D3F3000C 1C323D9E
	buffer_load_dword v38, v33, s[28:31], 0 offen              // 000000006E2C: E0501000 80072621
	v_fma_f32 v76, v8, v4, v76                                 // 000000006E34: D1CB004C 05320908
	v_fma_f32 v77, v9, v4, v77                                 // 000000006E3C: D1CB004D 05360909
	v_fma_f32 v78, v10, v4, v78                                // 000000006E44: D1CB004E 053A090A
	v_fma_f32 v79, v11, v4, v79                                // 000000006E4C: D1CB004F 053E090B
	v_mul_f32_dpp v6, v25, v43 row_newbcast:1 row_mask:0xf bank_mask:0xf// 000000006E54: 0A0C56FA FF015119
	v_mfma_f32_16x16x32_fp8_fp8 v[8:11], a[160:161], a[24:25], 0// 000000006E5C: D3F30008 1A0231A0
	v_mfma_f32_16x16x32_fp8_fp8 v[8:11], a[162:163], a[26:27], v[8:11]// 000000006E64: D3F30008 1C2235A2
	buffer_load_dword v39, v34, s[28:31], 0 offen              // 000000006E6C: E0501000 80072722
	v_mfma_f32_16x16x32_fp8_fp8 v[8:11], a[164:165], a[28:29], v[8:11]// 000000006E74: D3F30008 1C2239A4
	v_mfma_f32_16x16x32_fp8_fp8 v[8:11], a[166:167], a[30:31], v[8:11]// 000000006E7C: D3F30008 1C223DA6
	v_fma_f32 v96, v12, v4, v96                                // 000000006E84: D1CB0060 0582090C
	v_fma_f32 v97, v13, v4, v97                                // 000000006E8C: D1CB0061 0586090D
	v_fma_f32 v98, v14, v4, v98                                // 000000006E94: D1CB0062 058A090E
	v_fma_f32 v99, v15, v4, v99                                // 000000006E9C: D1CB0063 058E090F
	v_mfma_f32_16x16x32_fp8_fp8 v[12:15], a[168:169], a[24:25], 0// 000000006EA4: D3F3000C 1A0231A8
	v_mfma_f32_16x16x32_fp8_fp8 v[12:15], a[170:171], a[26:27], v[12:15]// 000000006EAC: D3F3000C 1C3235AA
	v_mfma_f32_16x16x32_fp8_fp8 v[12:15], a[172:173], a[28:29], v[12:15]// 000000006EB4: D3F3000C 1C3239AC
	v_mfma_f32_16x16x32_fp8_fp8 v[12:15], a[174:175], a[30:31], v[12:15]// 000000006EBC: D3F3000C 1C323DAE
	v_fma_f32 v116, v8, v6, v116                               // 000000006EC4: D1CB0074 05D20D08
	v_fma_f32 v117, v9, v6, v117                               // 000000006ECC: D1CB0075 05D60D09
	v_fma_f32 v118, v10, v6, v118                              // 000000006ED4: D1CB0076 05DA0D0A
	v_fma_f32 v119, v11, v6, v119                              // 000000006EDC: D1CB0077 05DE0D0B
	v_mul_f32_dpp v4, v25, v44 row_newbcast:0 row_mask:0xf bank_mask:0xf// 000000006EE4: 0A0858FA FF015019
	v_mfma_f32_16x16x32_fp8_fp8 v[8:11], a[144:145], a[32:33], 0// 000000006EEC: D3F30008 1A024190
	v_mfma_f32_16x16x32_fp8_fp8 v[8:11], a[146:147], a[34:35], v[8:11]// 000000006EF4: D3F30008 1C224592
	v_mfma_f32_16x16x32_fp8_fp8 v[8:11], a[148:149], a[36:37], v[8:11]// 000000006EFC: D3F30008 1C224994
	v_mfma_f32_16x16x32_fp8_fp8 v[8:11], a[150:151], a[38:39], v[8:11]// 000000006F04: D3F30008 1C224D96
	v_fma_f32 v136, v12, v6, v136                              // 000000006F0C: D1CB0088 06220D0C
	v_fma_f32 v137, v13, v6, v137                              // 000000006F14: D1CB0089 06260D0D
	v_fma_f32 v138, v14, v6, v138                              // 000000006F1C: D1CB008A 062A0D0E
	v_fma_f32 v139, v15, v6, v139                              // 000000006F24: D1CB008B 062E0D0F
	v_mfma_f32_16x16x32_fp8_fp8 v[12:15], a[152:153], a[32:33], 0// 000000006F2C: D3F3000C 1A024198
	v_mfma_f32_16x16x32_fp8_fp8 v[12:15], a[154:155], a[34:35], v[12:15]// 000000006F34: D3F3000C 1C32459A
	v_mfma_f32_16x16x32_fp8_fp8 v[12:15], a[156:157], a[36:37], v[12:15]// 000000006F3C: D3F3000C 1C32499C
	v_mfma_f32_16x16x32_fp8_fp8 v[12:15], a[158:159], a[38:39], v[12:15]// 000000006F44: D3F3000C 1C324D9E
	v_fma_f32 v80, v8, v4, v80                                 // 000000006F4C: D1CB0050 05420908
	v_fma_f32 v81, v9, v4, v81                                 // 000000006F54: D1CB0051 05460909
	v_fma_f32 v82, v10, v4, v82                                // 000000006F5C: D1CB0052 054A090A
	v_fma_f32 v83, v11, v4, v83                                // 000000006F64: D1CB0053 054E090B
	v_mul_f32_dpp v6, v25, v44 row_newbcast:1 row_mask:0xf bank_mask:0xf// 000000006F6C: 0A0C58FA FF015119
	v_mfma_f32_16x16x32_fp8_fp8 v[8:11], a[160:161], a[32:33], 0// 000000006F74: D3F30008 1A0241A0
	v_mfma_f32_16x16x32_fp8_fp8 v[8:11], a[162:163], a[34:35], v[8:11]// 000000006F7C: D3F30008 1C2245A2
	v_mfma_f32_16x16x32_fp8_fp8 v[8:11], a[164:165], a[36:37], v[8:11]// 000000006F84: D3F30008 1C2249A4
	v_mfma_f32_16x16x32_fp8_fp8 v[8:11], a[166:167], a[38:39], v[8:11]// 000000006F8C: D3F30008 1C224DA6
	v_fma_f32 v100, v12, v4, v100                              // 000000006F94: D1CB0064 0592090C
	v_fma_f32 v101, v13, v4, v101                              // 000000006F9C: D1CB0065 0596090D
	v_fma_f32 v102, v14, v4, v102                              // 000000006FA4: D1CB0066 059A090E
	v_fma_f32 v103, v15, v4, v103                              // 000000006FAC: D1CB0067 059E090F
	v_mfma_f32_16x16x32_fp8_fp8 v[12:15], a[168:169], a[32:33], 0// 000000006FB4: D3F3000C 1A0241A8
	v_mfma_f32_16x16x32_fp8_fp8 v[12:15], a[170:171], a[34:35], v[12:15]// 000000006FBC: D3F3000C 1C3245AA
	v_mfma_f32_16x16x32_fp8_fp8 v[12:15], a[172:173], a[36:37], v[12:15]// 000000006FC4: D3F3000C 1C3249AC
	v_mfma_f32_16x16x32_fp8_fp8 v[12:15], a[174:175], a[38:39], v[12:15]// 000000006FCC: D3F3000C 1C324DAE
	v_fma_f32 v120, v8, v6, v120                               // 000000006FD4: D1CB0078 05E20D08
	v_fma_f32 v121, v9, v6, v121                               // 000000006FDC: D1CB0079 05E60D09
	v_fma_f32 v122, v10, v6, v122                              // 000000006FE4: D1CB007A 05EA0D0A
	v_fma_f32 v123, v11, v6, v123                              // 000000006FEC: D1CB007B 05EE0D0B
	v_fma_f32 v140, v12, v6, v140                              // 000000006FF4: D1CB008C 06320D0C
	v_fma_f32 v141, v13, v6, v141                              // 000000006FFC: D1CB008D 06360D0D
	v_fma_f32 v142, v14, v6, v142                              // 000000007004: D1CB008E 063A0D0E
	v_fma_f32 v143, v15, v6, v143                              // 00000000700C: D1CB008F 063E0D0F
	s_waitcnt vmcnt(24)                                        // 000000007014: BF8C4F78
	s_barrier                                                  // 000000007018: BF8A0000
	v_mul_f32_dpp v4, v28, v40 row_newbcast:0 row_mask:0xf bank_mask:0xf// 00000000701C: 0A0850FA FF01501C
	v_mfma_f32_16x16x32_fp8_fp8 v[8:11], a[80:81], a[0:1], 0   // 000000007024: D3F30008 1A020150
	buffer_load_dword v29, v23, s[32:35], 0 offen              // 00000000702C: E0501000 80081D17
	v_mfma_f32_16x16x32_fp8_fp8 v[8:11], a[82:83], a[2:3], v[8:11]// 000000007034: D3F30008 1C220552
	buffer_load_dwordx4 a[144:147], v60, s[84:87], 0 offen     // 00000000703C: E05C1000 8095903C
	v_mfma_f32_16x16x32_fp8_fp8 v[8:11], a[84:85], a[4:5], v[8:11]// 000000007044: D3F30008 1C220954
	v_mfma_f32_16x16x32_fp8_fp8 v[8:11], a[86:87], a[6:7], v[8:11]// 00000000704C: D3F30008 1C220D56
	ds_read_b128 a[40:43], v2 offset:20736                     // 000000007054: DBFE5100 28000002
	ds_read_b128 a[44:47], v2 offset:20800                     // 00000000705C: DBFE5140 2C000002
	v_mfma_f32_16x16x32_fp8_fp8 v[12:15], a[88:89], a[0:1], 0  // 000000007064: D3F3000C 1A020158
	v_mfma_f32_16x16x32_fp8_fp8 v[12:15], a[90:91], a[2:3], v[12:15]// 00000000706C: D3F3000C 1C32055A
	buffer_load_dwordx4 a[148:151], v60, s[84:87], 0 offen offset:1024// 000000007074: E05C1400 8095943C
	v_mfma_f32_16x16x32_fp8_fp8 v[12:15], a[92:93], a[4:5], v[12:15]// 00000000707C: D3F3000C 1C32095C
	v_mfma_f32_16x16x32_fp8_fp8 v[12:15], a[94:95], a[6:7], v[12:15]// 000000007084: D3F3000C 1C320D5E
	ds_read_b128 a[48:51], v2 offset:21248                     // 00000000708C: DBFE5300 30000002
	ds_read_b128 a[52:55], v2 offset:21312                     // 000000007094: DBFE5340 34000002
	v_fma_f32 v144, v8, v4, v144                               // 00000000709C: D1CB0090 06420908
	v_fma_f32 v145, v9, v4, v145                               // 0000000070A4: D1CB0091 06460909
	v_fma_f32 v146, v10, v4, v146                              // 0000000070AC: D1CB0092 064A090A
	v_fma_f32 v147, v11, v4, v147                              // 0000000070B4: D1CB0093 064E090B
	v_mul_f32_dpp v6, v28, v40 row_newbcast:1 row_mask:0xf bank_mask:0xf// 0000000070BC: 0A0C50FA FF01511C
	v_mfma_f32_16x16x32_fp8_fp8 v[8:11], a[96:97], a[0:1], 0   // 0000000070C4: D3F30008 1A020160
	v_mfma_f32_16x16x32_fp8_fp8 v[8:11], a[98:99], a[2:3], v[8:11]// 0000000070CC: D3F30008 1C220562
	buffer_load_dwordx4 a[152:155], v61, s[84:87], 0 offen     // 0000000070D4: E05C1000 8095983D
	v_mfma_f32_16x16x32_fp8_fp8 v[8:11], a[100:101], a[4:5], v[8:11]// 0000000070DC: D3F30008 1C220964
	v_mfma_f32_16x16x32_fp8_fp8 v[8:11], a[102:103], a[6:7], v[8:11]// 0000000070E4: D3F30008 1C220D66
	ds_read_b128 a[56:59], v2 offset:21760                     // 0000000070EC: DBFE5500 38000002
	ds_read_b128 a[60:63], v2 offset:21824                     // 0000000070F4: DBFE5540 3C000002
	v_fma_f32 v164, v12, v4, v164                              // 0000000070FC: D1CB00A4 0692090C
	v_fma_f32 v165, v13, v4, v165                              // 000000007104: D1CB00A5 0696090D
	v_fma_f32 v166, v14, v4, v166                              // 00000000710C: D1CB00A6 069A090E
	v_fma_f32 v167, v15, v4, v167                              // 000000007114: D1CB00A7 069E090F
	v_mfma_f32_16x16x32_fp8_fp8 v[12:15], a[104:105], a[0:1], 0// 00000000711C: D3F3000C 1A020168
	v_mfma_f32_16x16x32_fp8_fp8 v[12:15], a[106:107], a[2:3], v[12:15]// 000000007124: D3F3000C 1C32056A
	buffer_load_dwordx4 a[156:159], v61, s[84:87], 0 offen offset:1024// 00000000712C: E05C1400 80959C3D
	v_mfma_f32_16x16x32_fp8_fp8 v[12:15], a[108:109], a[4:5], v[12:15]// 000000007134: D3F3000C 1C32096C
	v_mfma_f32_16x16x32_fp8_fp8 v[12:15], a[110:111], a[6:7], v[12:15]// 00000000713C: D3F3000C 1C320D6E
	ds_read_b128 a[64:67], v2 offset:22272                     // 000000007144: DBFE5700 40000002
	ds_read_b128 a[68:71], v2 offset:22336                     // 00000000714C: DBFE5740 44000002
	v_fma_f32 v184, v8, v6, v184                               // 000000007154: D1CB00B8 06E20D08
	v_fma_f32 v185, v9, v6, v185                               // 00000000715C: D1CB00B9 06E60D09
	v_fma_f32 v186, v10, v6, v186                              // 000000007164: D1CB00BA 06EA0D0A
	v_fma_f32 v187, v11, v6, v187                              // 00000000716C: D1CB00BB 06EE0D0B
	v_mul_f32_dpp v4, v28, v41 row_newbcast:0 row_mask:0xf bank_mask:0xf// 000000007174: 0A0852FA FF01501C
	v_mfma_f32_16x16x32_fp8_fp8 v[8:11], a[80:81], a[8:9], 0   // 00000000717C: D3F30008 1A021150
	v_mfma_f32_16x16x32_fp8_fp8 v[8:11], a[82:83], a[10:11], v[8:11]// 000000007184: D3F30008 1C221552
	buffer_load_dwordx4 a[160:163], v62, s[84:87], 0 offen     // 00000000718C: E05C1000 8095A03E
	v_mfma_f32_16x16x32_fp8_fp8 v[8:11], a[84:85], a[12:13], v[8:11]// 000000007194: D3F30008 1C221954
	v_mfma_f32_16x16x32_fp8_fp8 v[8:11], a[86:87], a[14:15], v[8:11]// 00000000719C: D3F30008 1C221D56
	ds_read_b128 a[72:75], v2 offset:22784                     // 0000000071A4: DBFE5900 48000002
	ds_read_b128 a[76:79], v2 offset:22848                     // 0000000071AC: DBFE5940 4C000002
	v_fma_f32 v204, v12, v6, v204                              // 0000000071B4: D1CB00CC 07320D0C
	v_fma_f32 v205, v13, v6, v205                              // 0000000071BC: D1CB00CD 07360D0D
	v_fma_f32 v206, v14, v6, v206                              // 0000000071C4: D1CB00CE 073A0D0E
	v_fma_f32 v207, v15, v6, v207                              // 0000000071CC: D1CB00CF 073E0D0F
	v_mfma_f32_16x16x32_fp8_fp8 v[12:15], a[88:89], a[8:9], 0  // 0000000071D4: D3F3000C 1A021158
	v_mfma_f32_16x16x32_fp8_fp8 v[12:15], a[90:91], a[10:11], v[12:15]// 0000000071DC: D3F3000C 1C32155A
	buffer_load_dwordx4 a[164:167], v62, s[84:87], 0 offen offset:1024// 0000000071E4: E05C1400 8095A43E
	v_mfma_f32_16x16x32_fp8_fp8 v[12:15], a[92:93], a[12:13], v[12:15]// 0000000071EC: D3F3000C 1C32195C
	v_mfma_f32_16x16x32_fp8_fp8 v[12:15], a[94:95], a[14:15], v[12:15]// 0000000071F4: D3F3000C 1C321D5E
	v_fma_f32 v148, v8, v4, v148                               // 0000000071FC: D1CB0094 06520908
	v_fma_f32 v149, v9, v4, v149                               // 000000007204: D1CB0095 06560909
	v_fma_f32 v150, v10, v4, v150                              // 00000000720C: D1CB0096 065A090A
	v_fma_f32 v151, v11, v4, v151                              // 000000007214: D1CB0097 065E090B
	v_mul_f32_dpp v6, v28, v41 row_newbcast:1 row_mask:0xf bank_mask:0xf// 00000000721C: 0A0C52FA FF01511C
	v_mfma_f32_16x16x32_fp8_fp8 v[8:11], a[96:97], a[8:9], 0   // 000000007224: D3F30008 1A021160
	v_mfma_f32_16x16x32_fp8_fp8 v[8:11], a[98:99], a[10:11], v[8:11]// 00000000722C: D3F30008 1C221562
	buffer_load_dwordx4 a[168:171], v63, s[84:87], 0 offen     // 000000007234: E05C1000 8095A83F
	v_mfma_f32_16x16x32_fp8_fp8 v[8:11], a[100:101], a[12:13], v[8:11]// 00000000723C: D3F30008 1C221964
	v_mfma_f32_16x16x32_fp8_fp8 v[8:11], a[102:103], a[14:15], v[8:11]// 000000007244: D3F30008 1C221D66
	v_fma_f32 v168, v12, v4, v168                              // 00000000724C: D1CB00A8 06A2090C
	v_fma_f32 v169, v13, v4, v169                              // 000000007254: D1CB00A9 06A6090D
	v_fma_f32 v170, v14, v4, v170                              // 00000000725C: D1CB00AA 06AA090E
	v_fma_f32 v171, v15, v4, v171                              // 000000007264: D1CB00AB 06AE090F
	v_mfma_f32_16x16x32_fp8_fp8 v[12:15], a[104:105], a[8:9], 0// 00000000726C: D3F3000C 1A021168
	v_mfma_f32_16x16x32_fp8_fp8 v[12:15], a[106:107], a[10:11], v[12:15]// 000000007274: D3F3000C 1C32156A
	buffer_load_dwordx4 a[172:175], v63, s[84:87], 0 offen offset:1024// 00000000727C: E05C1400 8095AC3F
	v_mfma_f32_16x16x32_fp8_fp8 v[12:15], a[108:109], a[12:13], v[12:15]// 000000007284: D3F3000C 1C32196C
	v_mfma_f32_16x16x32_fp8_fp8 v[12:15], a[110:111], a[14:15], v[12:15]// 00000000728C: D3F3000C 1C321D6E
	v_fma_f32 v188, v8, v6, v188                               // 000000007294: D1CB00BC 06F20D08
	v_fma_f32 v189, v9, v6, v189                               // 00000000729C: D1CB00BD 06F60D09
	v_fma_f32 v190, v10, v6, v190                              // 0000000072A4: D1CB00BE 06FA0D0A
	v_fma_f32 v191, v11, v6, v191                              // 0000000072AC: D1CB00BF 06FE0D0B
	v_mul_f32_dpp v4, v28, v42 row_newbcast:0 row_mask:0xf bank_mask:0xf// 0000000072B4: 0A0854FA FF01501C
	v_mfma_f32_16x16x32_fp8_fp8 v[8:11], a[80:81], a[16:17], 0 // 0000000072BC: D3F30008 1A022150
	v_mfma_f32_16x16x32_fp8_fp8 v[8:11], a[82:83], a[18:19], v[8:11]// 0000000072C4: D3F30008 1C222552
	v_mfma_f32_16x16x32_fp8_fp8 v[8:11], a[84:85], a[20:21], v[8:11]// 0000000072CC: D3F30008 1C222954
	v_mfma_f32_16x16x32_fp8_fp8 v[8:11], a[86:87], a[22:23], v[8:11]// 0000000072D4: D3F30008 1C222D56
	v_fma_f32 v208, v12, v6, v208                              // 0000000072DC: D1CB00D0 07420D0C
	v_fma_f32 v209, v13, v6, v209                              // 0000000072E4: D1CB00D1 07460D0D
	v_fma_f32 v210, v14, v6, v210                              // 0000000072EC: D1CB00D2 074A0D0E
	v_fma_f32 v211, v15, v6, v211                              // 0000000072F4: D1CB00D3 074E0D0F
	v_mfma_f32_16x16x32_fp8_fp8 v[12:15], a[88:89], a[16:17], 0// 0000000072FC: D3F3000C 1A022158
	v_mfma_f32_16x16x32_fp8_fp8 v[12:15], a[90:91], a[18:19], v[12:15]// 000000007304: D3F3000C 1C32255A
	v_mfma_f32_16x16x32_fp8_fp8 v[12:15], a[92:93], a[20:21], v[12:15]// 00000000730C: D3F3000C 1C32295C
	v_mfma_f32_16x16x32_fp8_fp8 v[12:15], a[94:95], a[22:23], v[12:15]// 000000007314: D3F3000C 1C322D5E
	v_fma_f32 v152, v8, v4, v152                               // 00000000731C: D1CB0098 06620908
	v_fma_f32 v153, v9, v4, v153                               // 000000007324: D1CB0099 06660909
	v_fma_f32 v154, v10, v4, v154                              // 00000000732C: D1CB009A 066A090A
	v_fma_f32 v155, v11, v4, v155                              // 000000007334: D1CB009B 066E090B
	v_mul_f32_dpp v6, v28, v42 row_newbcast:1 row_mask:0xf bank_mask:0xf// 00000000733C: 0A0C54FA FF01511C
	v_mfma_f32_16x16x32_fp8_fp8 v[8:11], a[96:97], a[16:17], 0 // 000000007344: D3F30008 1A022160
	v_mfma_f32_16x16x32_fp8_fp8 v[8:11], a[98:99], a[18:19], v[8:11]// 00000000734C: D3F30008 1C222562
	v_mfma_f32_16x16x32_fp8_fp8 v[8:11], a[100:101], a[20:21], v[8:11]// 000000007354: D3F30008 1C222964
	v_mfma_f32_16x16x32_fp8_fp8 v[8:11], a[102:103], a[22:23], v[8:11]// 00000000735C: D3F30008 1C222D66
	v_fma_f32 v172, v12, v4, v172                              // 000000007364: D1CB00AC 06B2090C
	v_fma_f32 v173, v13, v4, v173                              // 00000000736C: D1CB00AD 06B6090D
	v_fma_f32 v174, v14, v4, v174                              // 000000007374: D1CB00AE 06BA090E
	v_fma_f32 v175, v15, v4, v175                              // 00000000737C: D1CB00AF 06BE090F
	v_mfma_f32_16x16x32_fp8_fp8 v[12:15], a[104:105], a[16:17], 0// 000000007384: D3F3000C 1A022168
	v_mfma_f32_16x16x32_fp8_fp8 v[12:15], a[106:107], a[18:19], v[12:15]// 00000000738C: D3F3000C 1C32256A
	v_mfma_f32_16x16x32_fp8_fp8 v[12:15], a[108:109], a[20:21], v[12:15]// 000000007394: D3F3000C 1C32296C
	v_mfma_f32_16x16x32_fp8_fp8 v[12:15], a[110:111], a[22:23], v[12:15]// 00000000739C: D3F3000C 1C322D6E
	v_fma_f32 v192, v8, v6, v192                               // 0000000073A4: D1CB00C0 07020D08
	v_fma_f32 v193, v9, v6, v193                               // 0000000073AC: D1CB00C1 07060D09
	v_fma_f32 v194, v10, v6, v194                              // 0000000073B4: D1CB00C2 070A0D0A
	v_fma_f32 v195, v11, v6, v195                              // 0000000073BC: D1CB00C3 070E0D0B
	v_mul_f32_dpp v4, v28, v43 row_newbcast:0 row_mask:0xf bank_mask:0xf// 0000000073C4: 0A0856FA FF01501C
	v_mfma_f32_16x16x32_fp8_fp8 v[8:11], a[80:81], a[24:25], 0 // 0000000073CC: D3F30008 1A023150
	v_mfma_f32_16x16x32_fp8_fp8 v[8:11], a[82:83], a[26:27], v[8:11]// 0000000073D4: D3F30008 1C223552
	v_mfma_f32_16x16x32_fp8_fp8 v[8:11], a[84:85], a[28:29], v[8:11]// 0000000073DC: D3F30008 1C223954
	v_mfma_f32_16x16x32_fp8_fp8 v[8:11], a[86:87], a[30:31], v[8:11]// 0000000073E4: D3F30008 1C223D56
	v_fma_f32 v212, v12, v6, v212                              // 0000000073EC: D1CB00D4 07520D0C
	v_fma_f32 v213, v13, v6, v213                              // 0000000073F4: D1CB00D5 07560D0D
	v_fma_f32 v214, v14, v6, v214                              // 0000000073FC: D1CB00D6 075A0D0E
	v_fma_f32 v215, v15, v6, v215                              // 000000007404: D1CB00D7 075E0D0F
	v_mfma_f32_16x16x32_fp8_fp8 v[12:15], a[88:89], a[24:25], 0// 00000000740C: D3F3000C 1A023158
	v_mfma_f32_16x16x32_fp8_fp8 v[12:15], a[90:91], a[26:27], v[12:15]// 000000007414: D3F3000C 1C32355A
	v_mfma_f32_16x16x32_fp8_fp8 v[12:15], a[92:93], a[28:29], v[12:15]// 00000000741C: D3F3000C 1C32395C
	v_mfma_f32_16x16x32_fp8_fp8 v[12:15], a[94:95], a[30:31], v[12:15]// 000000007424: D3F3000C 1C323D5E
	v_fma_f32 v156, v8, v4, v156                               // 00000000742C: D1CB009C 06720908
	v_fma_f32 v157, v9, v4, v157                               // 000000007434: D1CB009D 06760909
	v_fma_f32 v158, v10, v4, v158                              // 00000000743C: D1CB009E 067A090A
	v_fma_f32 v159, v11, v4, v159                              // 000000007444: D1CB009F 067E090B
	v_mul_f32_dpp v6, v28, v43 row_newbcast:1 row_mask:0xf bank_mask:0xf// 00000000744C: 0A0C56FA FF01511C
	v_mfma_f32_16x16x32_fp8_fp8 v[8:11], a[96:97], a[24:25], 0 // 000000007454: D3F30008 1A023160
	v_mfma_f32_16x16x32_fp8_fp8 v[8:11], a[98:99], a[26:27], v[8:11]// 00000000745C: D3F30008 1C223562
	v_mfma_f32_16x16x32_fp8_fp8 v[8:11], a[100:101], a[28:29], v[8:11]// 000000007464: D3F30008 1C223964
	v_mfma_f32_16x16x32_fp8_fp8 v[8:11], a[102:103], a[30:31], v[8:11]// 00000000746C: D3F30008 1C223D66
	v_fma_f32 v176, v12, v4, v176                              // 000000007474: D1CB00B0 06C2090C
	v_fma_f32 v177, v13, v4, v177                              // 00000000747C: D1CB00B1 06C6090D
	v_fma_f32 v178, v14, v4, v178                              // 000000007484: D1CB00B2 06CA090E
	v_fma_f32 v179, v15, v4, v179                              // 00000000748C: D1CB00B3 06CE090F
	v_mfma_f32_16x16x32_fp8_fp8 v[12:15], a[104:105], a[24:25], 0// 000000007494: D3F3000C 1A023168
	v_mfma_f32_16x16x32_fp8_fp8 v[12:15], a[106:107], a[26:27], v[12:15]// 00000000749C: D3F3000C 1C32356A
	v_mfma_f32_16x16x32_fp8_fp8 v[12:15], a[108:109], a[28:29], v[12:15]// 0000000074A4: D3F3000C 1C32396C
	v_mfma_f32_16x16x32_fp8_fp8 v[12:15], a[110:111], a[30:31], v[12:15]// 0000000074AC: D3F3000C 1C323D6E
	v_fma_f32 v196, v8, v6, v196                               // 0000000074B4: D1CB00C4 07120D08
	v_fma_f32 v197, v9, v6, v197                               // 0000000074BC: D1CB00C5 07160D09
	v_fma_f32 v198, v10, v6, v198                              // 0000000074C4: D1CB00C6 071A0D0A
	v_fma_f32 v199, v11, v6, v199                              // 0000000074CC: D1CB00C7 071E0D0B
	v_mul_f32_dpp v4, v28, v44 row_newbcast:0 row_mask:0xf bank_mask:0xf// 0000000074D4: 0A0858FA FF01501C
	v_mfma_f32_16x16x32_fp8_fp8 v[8:11], a[80:81], a[32:33], 0 // 0000000074DC: D3F30008 1A024150
	v_mfma_f32_16x16x32_fp8_fp8 v[8:11], a[82:83], a[34:35], v[8:11]// 0000000074E4: D3F30008 1C224552
	v_mfma_f32_16x16x32_fp8_fp8 v[8:11], a[84:85], a[36:37], v[8:11]// 0000000074EC: D3F30008 1C224954
	v_mfma_f32_16x16x32_fp8_fp8 v[8:11], a[86:87], a[38:39], v[8:11]// 0000000074F4: D3F30008 1C224D56
	v_fma_f32 v216, v12, v6, v216                              // 0000000074FC: D1CB00D8 07620D0C
	v_fma_f32 v217, v13, v6, v217                              // 000000007504: D1CB00D9 07660D0D
	v_fma_f32 v218, v14, v6, v218                              // 00000000750C: D1CB00DA 076A0D0E
	v_fma_f32 v219, v15, v6, v219                              // 000000007514: D1CB00DB 076E0D0F
	v_mfma_f32_16x16x32_fp8_fp8 v[12:15], a[88:89], a[32:33], 0// 00000000751C: D3F3000C 1A024158
	v_mfma_f32_16x16x32_fp8_fp8 v[12:15], a[90:91], a[34:35], v[12:15]// 000000007524: D3F3000C 1C32455A
	v_mfma_f32_16x16x32_fp8_fp8 v[12:15], a[92:93], a[36:37], v[12:15]// 00000000752C: D3F3000C 1C32495C
	v_mfma_f32_16x16x32_fp8_fp8 v[12:15], a[94:95], a[38:39], v[12:15]// 000000007534: D3F3000C 1C324D5E
	v_fma_f32 v160, v8, v4, v160                               // 00000000753C: D1CB00A0 06820908
	v_fma_f32 v161, v9, v4, v161                               // 000000007544: D1CB00A1 06860909
	v_fma_f32 v162, v10, v4, v162                              // 00000000754C: D1CB00A2 068A090A
	v_fma_f32 v163, v11, v4, v163                              // 000000007554: D1CB00A3 068E090B
	v_mul_f32_dpp v6, v28, v44 row_newbcast:1 row_mask:0xf bank_mask:0xf// 00000000755C: 0A0C58FA FF01511C
	v_mfma_f32_16x16x32_fp8_fp8 v[8:11], a[96:97], a[32:33], 0 // 000000007564: D3F30008 1A024160
	s_add_u32 s60, 0x180, s80                                  // 00000000756C: 803C50FF 00000180
	s_cmp_lt_u32 s60, s81                                      // 000000007574: BF0A513C
	s_cselect_b32 s57, s57, 0                                  // 000000007578: 85398039
	s_cselect_b32 s3, s3, 0                                    // 00000000757C: 85038003
	v_mfma_f32_16x16x32_fp8_fp8 v[8:11], a[98:99], a[34:35], v[8:11]// 000000007580: D3F30008 1C224562
	s_add_u32 s60, 0x100, s80                                  // 000000007588: 803C50FF 00000100
	s_cmp_lt_u32 s60, s81                                      // 000000007590: BF0A513C
	s_cselect_b32 s58, s58, 0                                  // 000000007594: 853A803A
	v_mfma_f32_16x16x32_fp8_fp8 v[8:11], a[100:101], a[36:37], v[8:11]// 000000007598: D3F30008 1C224964
	s_add_u32 s60, 0x100, s80                                  // 0000000075A0: 803C50FF 00000100
	s_cmp_lt_u32 s60, s81                                      // 0000000075A8: BF0A513C
	s_cselect_b32 s83, s83, 0                                  // 0000000075AC: 85538053
	s_cselect_b32 s4, s4, 0                                    // 0000000075B0: 85048004
	v_mfma_f32_16x16x32_fp8_fp8 v[8:11], a[102:103], a[38:39], v[8:11]// 0000000075B4: D3F30008 1C224D66
	s_add_u32 s24, s58, s24                                    // 0000000075BC: 8018183A
	s_addc_u32 s25, 0, s25                                     // 0000000075C0: 82191980
	v_fma_f32 v180, v12, v4, v180                              // 0000000075C4: D1CB00B4 06D2090C
	v_fma_f32 v181, v13, v4, v181                              // 0000000075CC: D1CB00B5 06D6090D
	v_fma_f32 v182, v14, v4, v182                              // 0000000075D4: D1CB00B6 06DA090E
	v_fma_f32 v183, v15, v4, v183                              // 0000000075DC: D1CB00B7 06DE090F
	v_mfma_f32_16x16x32_fp8_fp8 v[12:15], a[104:105], a[32:33], 0// 0000000075E4: D3F3000C 1A024168
	s_add_u32 s20, s57, s20                                    // 0000000075EC: 80141439
	s_addc_u32 s21, 0, s21                                     // 0000000075F0: 82151580
	s_add_u32 s28, s3, s28                                     // 0000000075F4: 801C1C03
	s_addc_u32 s29, 0, s29                                     // 0000000075F8: 821D1D80
	v_mfma_f32_16x16x32_fp8_fp8 v[12:15], a[106:107], a[34:35], v[12:15]// 0000000075FC: D3F3000C 1C32456A
	s_add_u32 s84, s83, s84                                    // 000000007604: 80545453
	s_addc_u32 s85, 0, s85                                     // 000000007608: 82555580
	v_mfma_f32_16x16x32_fp8_fp8 v[12:15], a[108:109], a[36:37], v[12:15]// 00000000760C: D3F3000C 1C32496C
	s_add_u32 s32, s4, s32                                     // 000000007614: 80202004
	s_addc_u32 s33, 0, s33                                     // 000000007618: 82212180
	v_mfma_f32_16x16x32_fp8_fp8 v[12:15], a[110:111], a[38:39], v[12:15]// 00000000761C: D3F3000C 1C324D6E
	v_fma_f32 v200, v8, v6, v200                               // 000000007624: D1CB00C8 07220D08
	v_fma_f32 v201, v9, v6, v201                               // 00000000762C: D1CB00C9 07260D09
	v_fma_f32 v202, v10, v6, v202                              // 000000007634: D1CB00CA 072A0D0A
	v_fma_f32 v203, v11, v6, v203                              // 00000000763C: D1CB00CB 072E0D0B
	v_fma_f32 v220, v12, v6, v220                              // 000000007644: D1CB00DC 07720D0C
	v_fma_f32 v221, v13, v6, v221                              // 00000000764C: D1CB00DD 07760D0D
	v_fma_f32 v222, v14, v6, v222                              // 000000007654: D1CB00DE 077A0D0E
	v_fma_f32 v223, v15, v6, v223                              // 00000000765C: D1CB00DF 077E0D0F
	s_addk_i32 s80, 0x80                                       // 000000007664: B7500080
	s_cmp_lt_i32 s80, s81                                      // 000000007668: BF045150
	s_cbranch_scc0 label_164C                                  // 00000000766C: BF840330
	s_waitcnt vmcnt(24) lgkmcnt(0)                             // 000000007670: BF8C4078
	v_mul_f32_dpp v4, v26, v45 row_newbcast:0 row_mask:0xf bank_mask:0xf// 000000007674: 0A085AFA FF01501A
	v_mfma_f32_16x16x32_fp8_fp8 v[8:11], a[112:113], a[40:41], 0// 00000000767C: D3F30008 1A025170
	buffer_load_dword v24, v22, s[32:35], 0 offen              // 000000007684: E0501000 80081816
	v_mfma_f32_16x16x32_fp8_fp8 v[8:11], a[114:115], a[42:43], v[8:11]// 00000000768C: D3F30008 1C225572
	buffer_load_dwordx4 a[80:83], v60, s[24:27], 0 offen       // 000000007694: E05C1000 8086503C
	v_mfma_f32_16x16x32_fp8_fp8 v[8:11], a[116:117], a[44:45], v[8:11]// 00000000769C: D3F30008 1C225974
	v_mfma_f32_16x16x32_fp8_fp8 v[8:11], a[118:119], a[46:47], v[8:11]// 0000000076A4: D3F30008 1C225D76
	v_mfma_f32_16x16x32_fp8_fp8 v[12:15], a[120:121], a[40:41], 0// 0000000076AC: D3F3000C 1A025178
	v_mfma_f32_16x16x32_fp8_fp8 v[12:15], a[122:123], a[42:43], v[12:15]// 0000000076B4: D3F3000C 1C32557A
	buffer_load_dwordx4 a[84:87], v60, s[24:27], 0 offen offset:1024// 0000000076BC: E05C1400 8086543C
	v_mfma_f32_16x16x32_fp8_fp8 v[12:15], a[124:125], a[44:45], v[12:15]// 0000000076C4: D3F3000C 1C32597C
	v_mfma_f32_16x16x32_fp8_fp8 v[12:15], a[126:127], a[46:47], v[12:15]// 0000000076CC: D3F3000C 1C325D7E
	v_fma_f32 v64, v8, v4, v64                                 // 0000000076D4: D1CB0040 05020908
	v_fma_f32 v65, v9, v4, v65                                 // 0000000076DC: D1CB0041 05060909
	v_fma_f32 v66, v10, v4, v66                                // 0000000076E4: D1CB0042 050A090A
	v_fma_f32 v67, v11, v4, v67                                // 0000000076EC: D1CB0043 050E090B
	v_mul_f32_dpp v6, v26, v45 row_newbcast:1 row_mask:0xf bank_mask:0xf// 0000000076F4: 0A0C5AFA FF01511A
	v_mfma_f32_16x16x32_fp8_fp8 v[8:11], a[128:129], a[40:41], 0// 0000000076FC: D3F30008 1A025180
	v_mfma_f32_16x16x32_fp8_fp8 v[8:11], a[130:131], a[42:43], v[8:11]// 000000007704: D3F30008 1C225582
	buffer_load_dwordx4 a[88:91], v61, s[24:27], 0 offen       // 00000000770C: E05C1000 8086583D
	v_mfma_f32_16x16x32_fp8_fp8 v[8:11], a[132:133], a[44:45], v[8:11]// 000000007714: D3F30008 1C225984
	v_mfma_f32_16x16x32_fp8_fp8 v[8:11], a[134:135], a[46:47], v[8:11]// 00000000771C: D3F30008 1C225D86
	v_fma_f32 v84, v12, v4, v84                                // 000000007724: D1CB0054 0552090C
	v_fma_f32 v85, v13, v4, v85                                // 00000000772C: D1CB0055 0556090D
	v_fma_f32 v86, v14, v4, v86                                // 000000007734: D1CB0056 055A090E
	v_fma_f32 v87, v15, v4, v87                                // 00000000773C: D1CB0057 055E090F
	v_mfma_f32_16x16x32_fp8_fp8 v[12:15], a[136:137], a[40:41], 0// 000000007744: D3F3000C 1A025188
	v_mfma_f32_16x16x32_fp8_fp8 v[12:15], a[138:139], a[42:43], v[12:15]// 00000000774C: D3F3000C 1C32558A
	buffer_load_dwordx4 a[92:95], v61, s[24:27], 0 offen offset:1024// 000000007754: E05C1400 80865C3D
	v_mfma_f32_16x16x32_fp8_fp8 v[12:15], a[140:141], a[44:45], v[12:15]// 00000000775C: D3F3000C 1C32598C
	v_mfma_f32_16x16x32_fp8_fp8 v[12:15], a[142:143], a[46:47], v[12:15]// 000000007764: D3F3000C 1C325D8E
	v_fma_f32 v104, v8, v6, v104                               // 00000000776C: D1CB0068 05A20D08
	v_fma_f32 v105, v9, v6, v105                               // 000000007774: D1CB0069 05A60D09
	v_fma_f32 v106, v10, v6, v106                              // 00000000777C: D1CB006A 05AA0D0A
	v_fma_f32 v107, v11, v6, v107                              // 000000007784: D1CB006B 05AE0D0B
	v_mul_f32_dpp v4, v26, v46 row_newbcast:0 row_mask:0xf bank_mask:0xf// 00000000778C: 0A085CFA FF01501A
	v_mfma_f32_16x16x32_fp8_fp8 v[8:11], a[112:113], a[48:49], 0// 000000007794: D3F30008 1A026170
	v_mfma_f32_16x16x32_fp8_fp8 v[8:11], a[114:115], a[50:51], v[8:11]// 00000000779C: D3F30008 1C226572
	buffer_load_dwordx4 a[96:99], v62, s[24:27], 0 offen       // 0000000077A4: E05C1000 8086603E
	v_mfma_f32_16x16x32_fp8_fp8 v[8:11], a[116:117], a[52:53], v[8:11]// 0000000077AC: D3F30008 1C226974
	v_mfma_f32_16x16x32_fp8_fp8 v[8:11], a[118:119], a[54:55], v[8:11]// 0000000077B4: D3F30008 1C226D76
	v_fma_f32 v124, v12, v6, v124                              // 0000000077BC: D1CB007C 05F20D0C
	v_fma_f32 v125, v13, v6, v125                              // 0000000077C4: D1CB007D 05F60D0D
	v_fma_f32 v126, v14, v6, v126                              // 0000000077CC: D1CB007E 05FA0D0E
	v_fma_f32 v127, v15, v6, v127                              // 0000000077D4: D1CB007F 05FE0D0F
	v_mfma_f32_16x16x32_fp8_fp8 v[12:15], a[120:121], a[48:49], 0// 0000000077DC: D3F3000C 1A026178
	v_mfma_f32_16x16x32_fp8_fp8 v[12:15], a[122:123], a[50:51], v[12:15]// 0000000077E4: D3F3000C 1C32657A
	buffer_load_dwordx4 a[100:103], v62, s[24:27], 0 offen offset:1024// 0000000077EC: E05C1400 8086643E
	v_mfma_f32_16x16x32_fp8_fp8 v[12:15], a[124:125], a[52:53], v[12:15]// 0000000077F4: D3F3000C 1C32697C
	v_mfma_f32_16x16x32_fp8_fp8 v[12:15], a[126:127], a[54:55], v[12:15]// 0000000077FC: D3F3000C 1C326D7E
	v_fma_f32 v68, v8, v4, v68                                 // 000000007804: D1CB0044 05120908
	v_fma_f32 v69, v9, v4, v69                                 // 00000000780C: D1CB0045 05160909
	v_fma_f32 v70, v10, v4, v70                                // 000000007814: D1CB0046 051A090A
	v_fma_f32 v71, v11, v4, v71                                // 00000000781C: D1CB0047 051E090B
	v_mul_f32_dpp v6, v26, v46 row_newbcast:1 row_mask:0xf bank_mask:0xf// 000000007824: 0A0C5CFA FF01511A
	v_mfma_f32_16x16x32_fp8_fp8 v[8:11], a[128:129], a[48:49], 0// 00000000782C: D3F30008 1A026180
	v_mfma_f32_16x16x32_fp8_fp8 v[8:11], a[130:131], a[50:51], v[8:11]// 000000007834: D3F30008 1C226582
	buffer_load_dwordx4 a[104:107], v63, s[24:27], 0 offen     // 00000000783C: E05C1000 8086683F
	v_mfma_f32_16x16x32_fp8_fp8 v[8:11], a[132:133], a[52:53], v[8:11]// 000000007844: D3F30008 1C226984
	v_mfma_f32_16x16x32_fp8_fp8 v[8:11], a[134:135], a[54:55], v[8:11]// 00000000784C: D3F30008 1C226D86
	v_fma_f32 v88, v12, v4, v88                                // 000000007854: D1CB0058 0562090C
	v_fma_f32 v89, v13, v4, v89                                // 00000000785C: D1CB0059 0566090D
	v_fma_f32 v90, v14, v4, v90                                // 000000007864: D1CB005A 056A090E
	v_fma_f32 v91, v15, v4, v91                                // 00000000786C: D1CB005B 056E090F
	v_mfma_f32_16x16x32_fp8_fp8 v[12:15], a[136:137], a[48:49], 0// 000000007874: D3F3000C 1A026188
	v_mfma_f32_16x16x32_fp8_fp8 v[12:15], a[138:139], a[50:51], v[12:15]// 00000000787C: D3F3000C 1C32658A
	buffer_load_dwordx4 a[108:111], v63, s[24:27], 0 offen offset:1024// 000000007884: E05C1400 80866C3F
	buffer_load_dword v50, s[20:23], 0 offen lds               // 00000000788C: E0511000 80050032
	s_add_u32 m0, 0x100, s49                                   // 000000007894: 807C31FF 00000100
	v_mfma_f32_16x16x32_fp8_fp8 v[12:15], a[140:141], a[52:53], v[12:15]// 00000000789C: D3F3000C 1C32698C
	v_mfma_f32_16x16x32_fp8_fp8 v[12:15], a[142:143], a[54:55], v[12:15]// 0000000078A4: D3F3000C 1C326D8E
	buffer_load_dword v51, s[20:23], 0 offen lds               // 0000000078AC: E0511000 80050033
	s_add_u32 m0, 0x200, s49                                   // 0000000078B4: 807C31FF 00000200
	v_fma_f32 v108, v8, v6, v108                               // 0000000078BC: D1CB006C 05B20D08
	v_fma_f32 v109, v9, v6, v109                               // 0000000078C4: D1CB006D 05B60D09
	v_fma_f32 v110, v10, v6, v110                              // 0000000078CC: D1CB006E 05BA0D0A
	v_fma_f32 v111, v11, v6, v111                              // 0000000078D4: D1CB006F 05BE0D0B
	v_mul_f32_dpp v4, v26, v47 row_newbcast:0 row_mask:0xf bank_mask:0xf// 0000000078DC: 0A085EFA FF01501A
	v_mfma_f32_16x16x32_fp8_fp8 v[8:11], a[112:113], a[56:57], 0// 0000000078E4: D3F30008 1A027170
	v_mfma_f32_16x16x32_fp8_fp8 v[8:11], a[114:115], a[58:59], v[8:11]// 0000000078EC: D3F30008 1C227572
	buffer_load_dword v52, s[20:23], 0 offen lds               // 0000000078F4: E0511000 80050034
	s_add_u32 m0, 0x300, s49                                   // 0000000078FC: 807C31FF 00000300
	v_mfma_f32_16x16x32_fp8_fp8 v[8:11], a[116:117], a[60:61], v[8:11]// 000000007904: D3F30008 1C227974
	v_mfma_f32_16x16x32_fp8_fp8 v[8:11], a[118:119], a[62:63], v[8:11]// 00000000790C: D3F30008 1C227D76
	buffer_load_dword v53, s[20:23], 0 offen lds               // 000000007914: E0511000 80050035
	s_add_u32 m0, 0x400, s49                                   // 00000000791C: 807C31FF 00000400
	v_fma_f32 v128, v12, v6, v128                              // 000000007924: D1CB0080 06020D0C
	v_fma_f32 v129, v13, v6, v129                              // 00000000792C: D1CB0081 06060D0D
	v_fma_f32 v130, v14, v6, v130                              // 000000007934: D1CB0082 060A0D0E
	v_fma_f32 v131, v15, v6, v131                              // 00000000793C: D1CB0083 060E0D0F
	v_mfma_f32_16x16x32_fp8_fp8 v[12:15], a[120:121], a[56:57], 0// 000000007944: D3F3000C 1A027178
	v_mfma_f32_16x16x32_fp8_fp8 v[12:15], a[122:123], a[58:59], v[12:15]// 00000000794C: D3F3000C 1C32757A
	buffer_load_dword v54, s[20:23], 0 offen lds               // 000000007954: E0511000 80050036
	s_add_u32 m0, 0x500, s49                                   // 00000000795C: 807C31FF 00000500
	v_mfma_f32_16x16x32_fp8_fp8 v[12:15], a[124:125], a[60:61], v[12:15]// 000000007964: D3F3000C 1C32797C
	v_mfma_f32_16x16x32_fp8_fp8 v[12:15], a[126:127], a[62:63], v[12:15]// 00000000796C: D3F3000C 1C327D7E
	buffer_load_dword v55, s[20:23], 0 offen lds               // 000000007974: E0511000 80050037
	s_add_u32 m0, 0x600, s49                                   // 00000000797C: 807C31FF 00000600
	v_fma_f32 v72, v8, v4, v72                                 // 000000007984: D1CB0048 05220908
	v_fma_f32 v73, v9, v4, v73                                 // 00000000798C: D1CB0049 05260909
	v_fma_f32 v74, v10, v4, v74                                // 000000007994: D1CB004A 052A090A
	v_fma_f32 v75, v11, v4, v75                                // 00000000799C: D1CB004B 052E090B
	v_mul_f32_dpp v6, v26, v47 row_newbcast:1 row_mask:0xf bank_mask:0xf// 0000000079A4: 0A0C5EFA FF01511A
	v_mfma_f32_16x16x32_fp8_fp8 v[8:11], a[128:129], a[56:57], 0// 0000000079AC: D3F30008 1A027180
	v_mfma_f32_16x16x32_fp8_fp8 v[8:11], a[130:131], a[58:59], v[8:11]// 0000000079B4: D3F30008 1C227582
	buffer_load_dword v56, s[20:23], 0 offen lds               // 0000000079BC: E0511000 80050038
	s_add_u32 m0, 0x700, s49                                   // 0000000079C4: 807C31FF 00000700
	v_mfma_f32_16x16x32_fp8_fp8 v[8:11], a[132:133], a[60:61], v[8:11]// 0000000079CC: D3F30008 1C227984
	v_mfma_f32_16x16x32_fp8_fp8 v[8:11], a[134:135], a[62:63], v[8:11]// 0000000079D4: D3F30008 1C227D86
	buffer_load_dword v57, s[20:23], 0 offen lds               // 0000000079DC: E0511000 80050039
	s_add_u32 m0, 0x800, s49                                   // 0000000079E4: 807C31FF 00000800
	v_fma_f32 v92, v12, v4, v92                                // 0000000079EC: D1CB005C 0572090C
	v_fma_f32 v93, v13, v4, v93                                // 0000000079F4: D1CB005D 0576090D
	v_fma_f32 v94, v14, v4, v94                                // 0000000079FC: D1CB005E 057A090E
	v_fma_f32 v95, v15, v4, v95                                // 000000007A04: D1CB005F 057E090F
	v_mfma_f32_16x16x32_fp8_fp8 v[12:15], a[136:137], a[56:57], 0// 000000007A0C: D3F3000C 1A027188
	v_mfma_f32_16x16x32_fp8_fp8 v[12:15], a[138:139], a[58:59], v[12:15]// 000000007A14: D3F3000C 1C32758A
	buffer_load_dword v58, s[20:23], 0 offen lds               // 000000007A1C: E0511000 8005003A
	s_add_u32 m0, 0x900, s49                                   // 000000007A24: 807C31FF 00000900
	v_mfma_f32_16x16x32_fp8_fp8 v[12:15], a[140:141], a[60:61], v[12:15]// 000000007A2C: D3F3000C 1C32798C
	v_mfma_f32_16x16x32_fp8_fp8 v[12:15], a[142:143], a[62:63], v[12:15]// 000000007A34: D3F3000C 1C327D8E
	buffer_load_dword v59, s[20:23], 0 offen lds               // 000000007A3C: E0511000 8005003B
	s_add_u32 m0, 0, s50                                       // 000000007A44: 807C3280
	v_fma_f32 v112, v8, v6, v112                               // 000000007A48: D1CB0070 05C20D08
	v_fma_f32 v113, v9, v6, v113                               // 000000007A50: D1CB0071 05C60D09
	v_fma_f32 v114, v10, v6, v114                              // 000000007A58: D1CB0072 05CA0D0A
	v_fma_f32 v115, v11, v6, v115                              // 000000007A60: D1CB0073 05CE0D0B
	v_mul_f32_dpp v4, v26, v48 row_newbcast:0 row_mask:0xf bank_mask:0xf// 000000007A68: 0A0860FA FF01501A
	v_mfma_f32_16x16x32_fp8_fp8 v[8:11], a[112:113], a[64:65], 0// 000000007A70: D3F30008 1A028170
	v_mfma_f32_16x16x32_fp8_fp8 v[8:11], a[114:115], a[66:67], v[8:11]// 000000007A78: D3F30008 1C228572
	buffer_load_dword v40, v30, s[28:31], 0 offen              // 000000007A80: E0501000 8007281E
	v_mfma_f32_16x16x32_fp8_fp8 v[8:11], a[116:117], a[68:69], v[8:11]// 000000007A88: D3F30008 1C228974
	v_mfma_f32_16x16x32_fp8_fp8 v[8:11], a[118:119], a[70:71], v[8:11]// 000000007A90: D3F30008 1C228D76
	buffer_load_dword v41, v31, s[28:31], 0 offen              // 000000007A98: E0501000 8007291F
	v_fma_f32 v132, v12, v6, v132                              // 000000007AA0: D1CB0084 06120D0C
	v_fma_f32 v133, v13, v6, v133                              // 000000007AA8: D1CB0085 06160D0D
	v_fma_f32 v134, v14, v6, v134                              // 000000007AB0: D1CB0086 061A0D0E
	v_fma_f32 v135, v15, v6, v135                              // 000000007AB8: D1CB0087 061E0D0F
	v_mfma_f32_16x16x32_fp8_fp8 v[12:15], a[120:121], a[64:65], 0// 000000007AC0: D3F3000C 1A028178
	v_mfma_f32_16x16x32_fp8_fp8 v[12:15], a[122:123], a[66:67], v[12:15]// 000000007AC8: D3F3000C 1C32857A
	buffer_load_dword v42, v32, s[28:31], 0 offen              // 000000007AD0: E0501000 80072A20
	v_mfma_f32_16x16x32_fp8_fp8 v[12:15], a[124:125], a[68:69], v[12:15]// 000000007AD8: D3F3000C 1C32897C
	v_mfma_f32_16x16x32_fp8_fp8 v[12:15], a[126:127], a[70:71], v[12:15]// 000000007AE0: D3F3000C 1C328D7E
	buffer_load_dword v43, v33, s[28:31], 0 offen              // 000000007AE8: E0501000 80072B21
	v_fma_f32 v76, v8, v4, v76                                 // 000000007AF0: D1CB004C 05320908
	v_fma_f32 v77, v9, v4, v77                                 // 000000007AF8: D1CB004D 05360909
	v_fma_f32 v78, v10, v4, v78                                // 000000007B00: D1CB004E 053A090A
	v_fma_f32 v79, v11, v4, v79                                // 000000007B08: D1CB004F 053E090B
	v_mul_f32_dpp v6, v26, v48 row_newbcast:1 row_mask:0xf bank_mask:0xf// 000000007B10: 0A0C60FA FF01511A
	v_mfma_f32_16x16x32_fp8_fp8 v[8:11], a[128:129], a[64:65], 0// 000000007B18: D3F30008 1A028180
	v_mfma_f32_16x16x32_fp8_fp8 v[8:11], a[130:131], a[66:67], v[8:11]// 000000007B20: D3F30008 1C228582
	buffer_load_dword v44, v34, s[28:31], 0 offen              // 000000007B28: E0501000 80072C22
	v_mfma_f32_16x16x32_fp8_fp8 v[8:11], a[132:133], a[68:69], v[8:11]// 000000007B30: D3F30008 1C228984
	v_mfma_f32_16x16x32_fp8_fp8 v[8:11], a[134:135], a[70:71], v[8:11]// 000000007B38: D3F30008 1C228D86
	v_fma_f32 v96, v12, v4, v96                                // 000000007B40: D1CB0060 0582090C
	v_fma_f32 v97, v13, v4, v97                                // 000000007B48: D1CB0061 0586090D
	v_fma_f32 v98, v14, v4, v98                                // 000000007B50: D1CB0062 058A090E
	v_fma_f32 v99, v15, v4, v99                                // 000000007B58: D1CB0063 058E090F
	v_mfma_f32_16x16x32_fp8_fp8 v[12:15], a[136:137], a[64:65], 0// 000000007B60: D3F3000C 1A028188
	v_mfma_f32_16x16x32_fp8_fp8 v[12:15], a[138:139], a[66:67], v[12:15]// 000000007B68: D3F3000C 1C32858A
	v_mfma_f32_16x16x32_fp8_fp8 v[12:15], a[140:141], a[68:69], v[12:15]// 000000007B70: D3F3000C 1C32898C
	v_mfma_f32_16x16x32_fp8_fp8 v[12:15], a[142:143], a[70:71], v[12:15]// 000000007B78: D3F3000C 1C328D8E
	v_fma_f32 v116, v8, v6, v116                               // 000000007B80: D1CB0074 05D20D08
	v_fma_f32 v117, v9, v6, v117                               // 000000007B88: D1CB0075 05D60D09
	v_fma_f32 v118, v10, v6, v118                              // 000000007B90: D1CB0076 05DA0D0A
	v_fma_f32 v119, v11, v6, v119                              // 000000007B98: D1CB0077 05DE0D0B
	v_mul_f32_dpp v4, v26, v49 row_newbcast:0 row_mask:0xf bank_mask:0xf// 000000007BA0: 0A0862FA FF01501A
	v_mfma_f32_16x16x32_fp8_fp8 v[8:11], a[112:113], a[72:73], 0// 000000007BA8: D3F30008 1A029170
	v_mfma_f32_16x16x32_fp8_fp8 v[8:11], a[114:115], a[74:75], v[8:11]// 000000007BB0: D3F30008 1C229572
	v_mfma_f32_16x16x32_fp8_fp8 v[8:11], a[116:117], a[76:77], v[8:11]// 000000007BB8: D3F30008 1C229974
	v_mfma_f32_16x16x32_fp8_fp8 v[8:11], a[118:119], a[78:79], v[8:11]// 000000007BC0: D3F30008 1C229D76
	v_fma_f32 v136, v12, v6, v136                              // 000000007BC8: D1CB0088 06220D0C
	v_fma_f32 v137, v13, v6, v137                              // 000000007BD0: D1CB0089 06260D0D
	v_fma_f32 v138, v14, v6, v138                              // 000000007BD8: D1CB008A 062A0D0E
	v_fma_f32 v139, v15, v6, v139                              // 000000007BE0: D1CB008B 062E0D0F
	v_mfma_f32_16x16x32_fp8_fp8 v[12:15], a[120:121], a[72:73], 0// 000000007BE8: D3F3000C 1A029178
	v_mfma_f32_16x16x32_fp8_fp8 v[12:15], a[122:123], a[74:75], v[12:15]// 000000007BF0: D3F3000C 1C32957A
	v_mfma_f32_16x16x32_fp8_fp8 v[12:15], a[124:125], a[76:77], v[12:15]// 000000007BF8: D3F3000C 1C32997C
	v_mfma_f32_16x16x32_fp8_fp8 v[12:15], a[126:127], a[78:79], v[12:15]// 000000007C00: D3F3000C 1C329D7E
	v_fma_f32 v80, v8, v4, v80                                 // 000000007C08: D1CB0050 05420908
	v_fma_f32 v81, v9, v4, v81                                 // 000000007C10: D1CB0051 05460909
	v_fma_f32 v82, v10, v4, v82                                // 000000007C18: D1CB0052 054A090A
	v_fma_f32 v83, v11, v4, v83                                // 000000007C20: D1CB0053 054E090B
	v_mul_f32_dpp v6, v26, v49 row_newbcast:1 row_mask:0xf bank_mask:0xf// 000000007C28: 0A0C62FA FF01511A
	v_mfma_f32_16x16x32_fp8_fp8 v[8:11], a[128:129], a[72:73], 0// 000000007C30: D3F30008 1A029180
	v_mfma_f32_16x16x32_fp8_fp8 v[8:11], a[130:131], a[74:75], v[8:11]// 000000007C38: D3F30008 1C229582
	v_mfma_f32_16x16x32_fp8_fp8 v[8:11], a[132:133], a[76:77], v[8:11]// 000000007C40: D3F30008 1C229984
	v_mfma_f32_16x16x32_fp8_fp8 v[8:11], a[134:135], a[78:79], v[8:11]// 000000007C48: D3F30008 1C229D86
	v_fma_f32 v100, v12, v4, v100                              // 000000007C50: D1CB0064 0592090C
	v_fma_f32 v101, v13, v4, v101                              // 000000007C58: D1CB0065 0596090D
	v_fma_f32 v102, v14, v4, v102                              // 000000007C60: D1CB0066 059A090E
	v_fma_f32 v103, v15, v4, v103                              // 000000007C68: D1CB0067 059E090F
	v_mfma_f32_16x16x32_fp8_fp8 v[12:15], a[136:137], a[72:73], 0// 000000007C70: D3F3000C 1A029188
	v_mfma_f32_16x16x32_fp8_fp8 v[12:15], a[138:139], a[74:75], v[12:15]// 000000007C78: D3F3000C 1C32958A
	v_mfma_f32_16x16x32_fp8_fp8 v[12:15], a[140:141], a[76:77], v[12:15]// 000000007C80: D3F3000C 1C32998C
	v_mfma_f32_16x16x32_fp8_fp8 v[12:15], a[142:143], a[78:79], v[12:15]// 000000007C88: D3F3000C 1C329D8E
	v_fma_f32 v120, v8, v6, v120                               // 000000007C90: D1CB0078 05E20D08
	v_fma_f32 v121, v9, v6, v121                               // 000000007C98: D1CB0079 05E60D09
	v_fma_f32 v122, v10, v6, v122                              // 000000007CA0: D1CB007A 05EA0D0A
	v_fma_f32 v123, v11, v6, v123                              // 000000007CA8: D1CB007B 05EE0D0B
	v_fma_f32 v140, v12, v6, v140                              // 000000007CB0: D1CB008C 06320D0C
	v_fma_f32 v141, v13, v6, v141                              // 000000007CB8: D1CB008D 06360D0D
	v_fma_f32 v142, v14, v6, v142                              // 000000007CC0: D1CB008E 063A0D0E
	v_fma_f32 v143, v15, v6, v143                              // 000000007CC8: D1CB008F 063E0D0F
	s_waitcnt vmcnt(24)                                        // 000000007CD0: BF8C4F78
	s_barrier                                                  // 000000007CD4: BF8A0000
	v_mul_f32_dpp v4, v29, v45 row_newbcast:0 row_mask:0xf bank_mask:0xf// 000000007CD8: 0A085AFA FF01501D
	v_mfma_f32_16x16x32_fp8_fp8 v[8:11], a[144:145], a[40:41], 0// 000000007CE0: D3F30008 1A025190
	buffer_load_dword v27, v23, s[32:35], 0 offen              // 000000007CE8: E0501000 80081B17
	v_mfma_f32_16x16x32_fp8_fp8 v[8:11], a[146:147], a[42:43], v[8:11]// 000000007CF0: D3F30008 1C225592
	buffer_load_dwordx4 a[112:115], v60, s[84:87], 0 offen     // 000000007CF8: E05C1000 8095703C
	v_mfma_f32_16x16x32_fp8_fp8 v[8:11], a[148:149], a[44:45], v[8:11]// 000000007D00: D3F30008 1C225994
	v_mfma_f32_16x16x32_fp8_fp8 v[8:11], a[150:151], a[46:47], v[8:11]// 000000007D08: D3F30008 1C225D96
	ds_read_b128 a[0:3], v2                                    // 000000007D10: DBFE0000 00000002
	ds_read_b128 a[4:7], v2 offset:64                          // 000000007D18: DBFE0040 04000002
	v_mfma_f32_16x16x32_fp8_fp8 v[12:15], a[152:153], a[40:41], 0// 000000007D20: D3F3000C 1A025198
	v_mfma_f32_16x16x32_fp8_fp8 v[12:15], a[154:155], a[42:43], v[12:15]// 000000007D28: D3F3000C 1C32559A
	buffer_load_dwordx4 a[116:119], v60, s[84:87], 0 offen offset:1024// 000000007D30: E05C1400 8095743C
	v_mfma_f32_16x16x32_fp8_fp8 v[12:15], a[156:157], a[44:45], v[12:15]// 000000007D38: D3F3000C 1C32599C
	v_mfma_f32_16x16x32_fp8_fp8 v[12:15], a[158:159], a[46:47], v[12:15]// 000000007D40: D3F3000C 1C325D9E
	ds_read_b128 a[8:11], v2 offset:512                        // 000000007D48: DBFE0200 08000002
	ds_read_b128 a[12:15], v2 offset:576                       // 000000007D50: DBFE0240 0C000002
	v_fma_f32 v144, v8, v4, v144                               // 000000007D58: D1CB0090 06420908
	v_fma_f32 v145, v9, v4, v145                               // 000000007D60: D1CB0091 06460909
	v_fma_f32 v146, v10, v4, v146                              // 000000007D68: D1CB0092 064A090A
	v_fma_f32 v147, v11, v4, v147                              // 000000007D70: D1CB0093 064E090B
	v_mul_f32_dpp v6, v29, v45 row_newbcast:1 row_mask:0xf bank_mask:0xf// 000000007D78: 0A0C5AFA FF01511D
	v_mfma_f32_16x16x32_fp8_fp8 v[8:11], a[160:161], a[40:41], 0// 000000007D80: D3F30008 1A0251A0
	v_mfma_f32_16x16x32_fp8_fp8 v[8:11], a[162:163], a[42:43], v[8:11]// 000000007D88: D3F30008 1C2255A2
	buffer_load_dwordx4 a[120:123], v61, s[84:87], 0 offen     // 000000007D90: E05C1000 8095783D
	v_mfma_f32_16x16x32_fp8_fp8 v[8:11], a[164:165], a[44:45], v[8:11]// 000000007D98: D3F30008 1C2259A4
	v_mfma_f32_16x16x32_fp8_fp8 v[8:11], a[166:167], a[46:47], v[8:11]// 000000007DA0: D3F30008 1C225DA6
	ds_read_b128 a[16:19], v2 offset:1024                      // 000000007DA8: DBFE0400 10000002
	ds_read_b128 a[20:23], v2 offset:1088                      // 000000007DB0: DBFE0440 14000002
	v_fma_f32 v164, v12, v4, v164                              // 000000007DB8: D1CB00A4 0692090C
	v_fma_f32 v165, v13, v4, v165                              // 000000007DC0: D1CB00A5 0696090D
	v_fma_f32 v166, v14, v4, v166                              // 000000007DC8: D1CB00A6 069A090E
	v_fma_f32 v167, v15, v4, v167                              // 000000007DD0: D1CB00A7 069E090F
	v_mfma_f32_16x16x32_fp8_fp8 v[12:15], a[168:169], a[40:41], 0// 000000007DD8: D3F3000C 1A0251A8
	v_mfma_f32_16x16x32_fp8_fp8 v[12:15], a[170:171], a[42:43], v[12:15]// 000000007DE0: D3F3000C 1C3255AA
	buffer_load_dwordx4 a[124:127], v61, s[84:87], 0 offen offset:1024// 000000007DE8: E05C1400 80957C3D
	v_mfma_f32_16x16x32_fp8_fp8 v[12:15], a[172:173], a[44:45], v[12:15]// 000000007DF0: D3F3000C 1C3259AC
	v_mfma_f32_16x16x32_fp8_fp8 v[12:15], a[174:175], a[46:47], v[12:15]// 000000007DF8: D3F3000C 1C325DAE
	ds_read_b128 a[24:27], v2 offset:1536                      // 000000007E00: DBFE0600 18000002
	ds_read_b128 a[28:31], v2 offset:1600                      // 000000007E08: DBFE0640 1C000002
	v_fma_f32 v184, v8, v6, v184                               // 000000007E10: D1CB00B8 06E20D08
	v_fma_f32 v185, v9, v6, v185                               // 000000007E18: D1CB00B9 06E60D09
	v_fma_f32 v186, v10, v6, v186                              // 000000007E20: D1CB00BA 06EA0D0A
	v_fma_f32 v187, v11, v6, v187                              // 000000007E28: D1CB00BB 06EE0D0B
	v_mul_f32_dpp v4, v29, v46 row_newbcast:0 row_mask:0xf bank_mask:0xf// 000000007E30: 0A085CFA FF01501D
	v_mfma_f32_16x16x32_fp8_fp8 v[8:11], a[144:145], a[48:49], 0// 000000007E38: D3F30008 1A026190
	v_mfma_f32_16x16x32_fp8_fp8 v[8:11], a[146:147], a[50:51], v[8:11]// 000000007E40: D3F30008 1C226592
	buffer_load_dwordx4 a[128:131], v62, s[84:87], 0 offen     // 000000007E48: E05C1000 8095803E
	v_mfma_f32_16x16x32_fp8_fp8 v[8:11], a[148:149], a[52:53], v[8:11]// 000000007E50: D3F30008 1C226994
	v_mfma_f32_16x16x32_fp8_fp8 v[8:11], a[150:151], a[54:55], v[8:11]// 000000007E58: D3F30008 1C226D96
	ds_read_b128 a[32:35], v2 offset:2048                      // 000000007E60: DBFE0800 20000002
	ds_read_b128 a[36:39], v2 offset:2112                      // 000000007E68: DBFE0840 24000002
	v_fma_f32 v204, v12, v6, v204                              // 000000007E70: D1CB00CC 07320D0C
	v_fma_f32 v205, v13, v6, v205                              // 000000007E78: D1CB00CD 07360D0D
	v_fma_f32 v206, v14, v6, v206                              // 000000007E80: D1CB00CE 073A0D0E
	v_fma_f32 v207, v15, v6, v207                              // 000000007E88: D1CB00CF 073E0D0F
	v_mfma_f32_16x16x32_fp8_fp8 v[12:15], a[152:153], a[48:49], 0// 000000007E90: D3F3000C 1A026198
	v_mfma_f32_16x16x32_fp8_fp8 v[12:15], a[154:155], a[50:51], v[12:15]// 000000007E98: D3F3000C 1C32659A
	buffer_load_dwordx4 a[132:135], v62, s[84:87], 0 offen offset:1024// 000000007EA0: E05C1400 8095843E
	v_mfma_f32_16x16x32_fp8_fp8 v[12:15], a[156:157], a[52:53], v[12:15]// 000000007EA8: D3F3000C 1C32699C
	v_mfma_f32_16x16x32_fp8_fp8 v[12:15], a[158:159], a[54:55], v[12:15]// 000000007EB0: D3F3000C 1C326D9E
	v_fma_f32 v148, v8, v4, v148                               // 000000007EB8: D1CB0094 06520908
	v_fma_f32 v149, v9, v4, v149                               // 000000007EC0: D1CB0095 06560909
	v_fma_f32 v150, v10, v4, v150                              // 000000007EC8: D1CB0096 065A090A
	v_fma_f32 v151, v11, v4, v151                              // 000000007ED0: D1CB0097 065E090B
	v_mul_f32_dpp v6, v29, v46 row_newbcast:1 row_mask:0xf bank_mask:0xf// 000000007ED8: 0A0C5CFA FF01511D
	v_mfma_f32_16x16x32_fp8_fp8 v[8:11], a[160:161], a[48:49], 0// 000000007EE0: D3F30008 1A0261A0
	v_mfma_f32_16x16x32_fp8_fp8 v[8:11], a[162:163], a[50:51], v[8:11]// 000000007EE8: D3F30008 1C2265A2
	buffer_load_dwordx4 a[136:139], v63, s[84:87], 0 offen     // 000000007EF0: E05C1000 8095883F
	v_mfma_f32_16x16x32_fp8_fp8 v[8:11], a[164:165], a[52:53], v[8:11]// 000000007EF8: D3F30008 1C2269A4
	v_mfma_f32_16x16x32_fp8_fp8 v[8:11], a[166:167], a[54:55], v[8:11]// 000000007F00: D3F30008 1C226DA6
	v_fma_f32 v168, v12, v4, v168                              // 000000007F08: D1CB00A8 06A2090C
	v_fma_f32 v169, v13, v4, v169                              // 000000007F10: D1CB00A9 06A6090D
	v_fma_f32 v170, v14, v4, v170                              // 000000007F18: D1CB00AA 06AA090E
	v_fma_f32 v171, v15, v4, v171                              // 000000007F20: D1CB00AB 06AE090F
	v_mfma_f32_16x16x32_fp8_fp8 v[12:15], a[168:169], a[48:49], 0// 000000007F28: D3F3000C 1A0261A8
	v_mfma_f32_16x16x32_fp8_fp8 v[12:15], a[170:171], a[50:51], v[12:15]// 000000007F30: D3F3000C 1C3265AA
	buffer_load_dwordx4 a[140:143], v63, s[84:87], 0 offen offset:1024// 000000007F38: E05C1400 80958C3F
	v_mfma_f32_16x16x32_fp8_fp8 v[12:15], a[172:173], a[52:53], v[12:15]// 000000007F40: D3F3000C 1C3269AC
	v_mfma_f32_16x16x32_fp8_fp8 v[12:15], a[174:175], a[54:55], v[12:15]// 000000007F48: D3F3000C 1C326DAE
	v_fma_f32 v188, v8, v6, v188                               // 000000007F50: D1CB00BC 06F20D08
	v_fma_f32 v189, v9, v6, v189                               // 000000007F58: D1CB00BD 06F60D09
	v_fma_f32 v190, v10, v6, v190                              // 000000007F60: D1CB00BE 06FA0D0A
	v_fma_f32 v191, v11, v6, v191                              // 000000007F68: D1CB00BF 06FE0D0B
	v_mul_f32_dpp v4, v29, v47 row_newbcast:0 row_mask:0xf bank_mask:0xf// 000000007F70: 0A085EFA FF01501D
	v_mfma_f32_16x16x32_fp8_fp8 v[8:11], a[144:145], a[56:57], 0// 000000007F78: D3F30008 1A027190
	v_mfma_f32_16x16x32_fp8_fp8 v[8:11], a[146:147], a[58:59], v[8:11]// 000000007F80: D3F30008 1C227592
	v_mfma_f32_16x16x32_fp8_fp8 v[8:11], a[148:149], a[60:61], v[8:11]// 000000007F88: D3F30008 1C227994
	v_mfma_f32_16x16x32_fp8_fp8 v[8:11], a[150:151], a[62:63], v[8:11]// 000000007F90: D3F30008 1C227D96
	v_fma_f32 v208, v12, v6, v208                              // 000000007F98: D1CB00D0 07420D0C
	v_fma_f32 v209, v13, v6, v209                              // 000000007FA0: D1CB00D1 07460D0D
	v_fma_f32 v210, v14, v6, v210                              // 000000007FA8: D1CB00D2 074A0D0E
	v_fma_f32 v211, v15, v6, v211                              // 000000007FB0: D1CB00D3 074E0D0F
	v_mfma_f32_16x16x32_fp8_fp8 v[12:15], a[152:153], a[56:57], 0// 000000007FB8: D3F3000C 1A027198
	v_mfma_f32_16x16x32_fp8_fp8 v[12:15], a[154:155], a[58:59], v[12:15]// 000000007FC0: D3F3000C 1C32759A
	v_mfma_f32_16x16x32_fp8_fp8 v[12:15], a[156:157], a[60:61], v[12:15]// 000000007FC8: D3F3000C 1C32799C
	v_mfma_f32_16x16x32_fp8_fp8 v[12:15], a[158:159], a[62:63], v[12:15]// 000000007FD0: D3F3000C 1C327D9E
	v_fma_f32 v152, v8, v4, v152                               // 000000007FD8: D1CB0098 06620908
	v_fma_f32 v153, v9, v4, v153                               // 000000007FE0: D1CB0099 06660909
	v_fma_f32 v154, v10, v4, v154                              // 000000007FE8: D1CB009A 066A090A
	v_fma_f32 v155, v11, v4, v155                              // 000000007FF0: D1CB009B 066E090B
	v_mul_f32_dpp v6, v29, v47 row_newbcast:1 row_mask:0xf bank_mask:0xf// 000000007FF8: 0A0C5EFA FF01511D
	v_mfma_f32_16x16x32_fp8_fp8 v[8:11], a[160:161], a[56:57], 0// 000000008000: D3F30008 1A0271A0
	v_mfma_f32_16x16x32_fp8_fp8 v[8:11], a[162:163], a[58:59], v[8:11]// 000000008008: D3F30008 1C2275A2
	v_mfma_f32_16x16x32_fp8_fp8 v[8:11], a[164:165], a[60:61], v[8:11]// 000000008010: D3F30008 1C2279A4
	v_mfma_f32_16x16x32_fp8_fp8 v[8:11], a[166:167], a[62:63], v[8:11]// 000000008018: D3F30008 1C227DA6
	v_fma_f32 v172, v12, v4, v172                              // 000000008020: D1CB00AC 06B2090C
	v_fma_f32 v173, v13, v4, v173                              // 000000008028: D1CB00AD 06B6090D
	v_fma_f32 v174, v14, v4, v174                              // 000000008030: D1CB00AE 06BA090E
	v_fma_f32 v175, v15, v4, v175                              // 000000008038: D1CB00AF 06BE090F
	v_mfma_f32_16x16x32_fp8_fp8 v[12:15], a[168:169], a[56:57], 0// 000000008040: D3F3000C 1A0271A8
	v_mfma_f32_16x16x32_fp8_fp8 v[12:15], a[170:171], a[58:59], v[12:15]// 000000008048: D3F3000C 1C3275AA
	v_mfma_f32_16x16x32_fp8_fp8 v[12:15], a[172:173], a[60:61], v[12:15]// 000000008050: D3F3000C 1C3279AC
	v_mfma_f32_16x16x32_fp8_fp8 v[12:15], a[174:175], a[62:63], v[12:15]// 000000008058: D3F3000C 1C327DAE
	v_fma_f32 v192, v8, v6, v192                               // 000000008060: D1CB00C0 07020D08
	v_fma_f32 v193, v9, v6, v193                               // 000000008068: D1CB00C1 07060D09
	v_fma_f32 v194, v10, v6, v194                              // 000000008070: D1CB00C2 070A0D0A
	v_fma_f32 v195, v11, v6, v195                              // 000000008078: D1CB00C3 070E0D0B
	v_mul_f32_dpp v4, v29, v48 row_newbcast:0 row_mask:0xf bank_mask:0xf// 000000008080: 0A0860FA FF01501D
	v_mfma_f32_16x16x32_fp8_fp8 v[8:11], a[144:145], a[64:65], 0// 000000008088: D3F30008 1A028190
	v_mfma_f32_16x16x32_fp8_fp8 v[8:11], a[146:147], a[66:67], v[8:11]// 000000008090: D3F30008 1C228592
	v_mfma_f32_16x16x32_fp8_fp8 v[8:11], a[148:149], a[68:69], v[8:11]// 000000008098: D3F30008 1C228994
	v_mfma_f32_16x16x32_fp8_fp8 v[8:11], a[150:151], a[70:71], v[8:11]// 0000000080A0: D3F30008 1C228D96
	v_fma_f32 v212, v12, v6, v212                              // 0000000080A8: D1CB00D4 07520D0C
	v_fma_f32 v213, v13, v6, v213                              // 0000000080B0: D1CB00D5 07560D0D
	v_fma_f32 v214, v14, v6, v214                              // 0000000080B8: D1CB00D6 075A0D0E
	v_fma_f32 v215, v15, v6, v215                              // 0000000080C0: D1CB00D7 075E0D0F
	v_mfma_f32_16x16x32_fp8_fp8 v[12:15], a[152:153], a[64:65], 0// 0000000080C8: D3F3000C 1A028198
	v_mfma_f32_16x16x32_fp8_fp8 v[12:15], a[154:155], a[66:67], v[12:15]// 0000000080D0: D3F3000C 1C32859A
	v_mfma_f32_16x16x32_fp8_fp8 v[12:15], a[156:157], a[68:69], v[12:15]// 0000000080D8: D3F3000C 1C32899C
	v_mfma_f32_16x16x32_fp8_fp8 v[12:15], a[158:159], a[70:71], v[12:15]// 0000000080E0: D3F3000C 1C328D9E
	v_fma_f32 v156, v8, v4, v156                               // 0000000080E8: D1CB009C 06720908
	v_fma_f32 v157, v9, v4, v157                               // 0000000080F0: D1CB009D 06760909
	v_fma_f32 v158, v10, v4, v158                              // 0000000080F8: D1CB009E 067A090A
	v_fma_f32 v159, v11, v4, v159                              // 000000008100: D1CB009F 067E090B
	v_mul_f32_dpp v6, v29, v48 row_newbcast:1 row_mask:0xf bank_mask:0xf// 000000008108: 0A0C60FA FF01511D
	v_mfma_f32_16x16x32_fp8_fp8 v[8:11], a[160:161], a[64:65], 0// 000000008110: D3F30008 1A0281A0
	v_mfma_f32_16x16x32_fp8_fp8 v[8:11], a[162:163], a[66:67], v[8:11]// 000000008118: D3F30008 1C2285A2
	v_mfma_f32_16x16x32_fp8_fp8 v[8:11], a[164:165], a[68:69], v[8:11]// 000000008120: D3F30008 1C2289A4
	v_mfma_f32_16x16x32_fp8_fp8 v[8:11], a[166:167], a[70:71], v[8:11]// 000000008128: D3F30008 1C228DA6
	v_fma_f32 v176, v12, v4, v176                              // 000000008130: D1CB00B0 06C2090C
	v_fma_f32 v177, v13, v4, v177                              // 000000008138: D1CB00B1 06C6090D
	v_fma_f32 v178, v14, v4, v178                              // 000000008140: D1CB00B2 06CA090E
	v_fma_f32 v179, v15, v4, v179                              // 000000008148: D1CB00B3 06CE090F
	v_mfma_f32_16x16x32_fp8_fp8 v[12:15], a[168:169], a[64:65], 0// 000000008150: D3F3000C 1A0281A8
	v_mfma_f32_16x16x32_fp8_fp8 v[12:15], a[170:171], a[66:67], v[12:15]// 000000008158: D3F3000C 1C3285AA
	v_mfma_f32_16x16x32_fp8_fp8 v[12:15], a[172:173], a[68:69], v[12:15]// 000000008160: D3F3000C 1C3289AC
	v_mfma_f32_16x16x32_fp8_fp8 v[12:15], a[174:175], a[70:71], v[12:15]// 000000008168: D3F3000C 1C328DAE
	v_fma_f32 v196, v8, v6, v196                               // 000000008170: D1CB00C4 07120D08
	v_fma_f32 v197, v9, v6, v197                               // 000000008178: D1CB00C5 07160D09
	v_fma_f32 v198, v10, v6, v198                              // 000000008180: D1CB00C6 071A0D0A
	v_fma_f32 v199, v11, v6, v199                              // 000000008188: D1CB00C7 071E0D0B
	v_mul_f32_dpp v4, v29, v49 row_newbcast:0 row_mask:0xf bank_mask:0xf// 000000008190: 0A0862FA FF01501D
	v_mfma_f32_16x16x32_fp8_fp8 v[8:11], a[144:145], a[72:73], 0// 000000008198: D3F30008 1A029190
	v_mfma_f32_16x16x32_fp8_fp8 v[8:11], a[146:147], a[74:75], v[8:11]// 0000000081A0: D3F30008 1C229592
	v_mfma_f32_16x16x32_fp8_fp8 v[8:11], a[148:149], a[76:77], v[8:11]// 0000000081A8: D3F30008 1C229994
	v_mfma_f32_16x16x32_fp8_fp8 v[8:11], a[150:151], a[78:79], v[8:11]// 0000000081B0: D3F30008 1C229D96
	v_fma_f32 v216, v12, v6, v216                              // 0000000081B8: D1CB00D8 07620D0C
	v_fma_f32 v217, v13, v6, v217                              // 0000000081C0: D1CB00D9 07660D0D
	v_fma_f32 v218, v14, v6, v218                              // 0000000081C8: D1CB00DA 076A0D0E
	v_fma_f32 v219, v15, v6, v219                              // 0000000081D0: D1CB00DB 076E0D0F
	v_mfma_f32_16x16x32_fp8_fp8 v[12:15], a[152:153], a[72:73], 0// 0000000081D8: D3F3000C 1A029198
	v_mfma_f32_16x16x32_fp8_fp8 v[12:15], a[154:155], a[74:75], v[12:15]// 0000000081E0: D3F3000C 1C32959A
	v_mfma_f32_16x16x32_fp8_fp8 v[12:15], a[156:157], a[76:77], v[12:15]// 0000000081E8: D3F3000C 1C32999C
	v_mfma_f32_16x16x32_fp8_fp8 v[12:15], a[158:159], a[78:79], v[12:15]// 0000000081F0: D3F3000C 1C329D9E
	v_fma_f32 v160, v8, v4, v160                               // 0000000081F8: D1CB00A0 06820908
	v_fma_f32 v161, v9, v4, v161                               // 000000008200: D1CB00A1 06860909
	v_fma_f32 v162, v10, v4, v162                              // 000000008208: D1CB00A2 068A090A
	v_fma_f32 v163, v11, v4, v163                              // 000000008210: D1CB00A3 068E090B
	v_mul_f32_dpp v6, v29, v49 row_newbcast:1 row_mask:0xf bank_mask:0xf// 000000008218: 0A0C62FA FF01511D
	v_mfma_f32_16x16x32_fp8_fp8 v[8:11], a[160:161], a[72:73], 0// 000000008220: D3F30008 1A0291A0
	s_add_u32 s60, 0x180, s80                                  // 000000008228: 803C50FF 00000180
	s_cmp_lt_u32 s60, s81                                      // 000000008230: BF0A513C
	s_cselect_b32 s57, s57, 0                                  // 000000008234: 85398039
	s_cselect_b32 s3, s3, 0                                    // 000000008238: 85038003
	v_mfma_f32_16x16x32_fp8_fp8 v[8:11], a[162:163], a[74:75], v[8:11]// 00000000823C: D3F30008 1C2295A2
	s_add_u32 s60, 0x100, s80                                  // 000000008244: 803C50FF 00000100
	s_cmp_lt_u32 s60, s81                                      // 00000000824C: BF0A513C
	s_cselect_b32 s58, s58, 0                                  // 000000008250: 853A803A
	v_mfma_f32_16x16x32_fp8_fp8 v[8:11], a[164:165], a[76:77], v[8:11]// 000000008254: D3F30008 1C2299A4
	s_add_u32 s60, 0x100, s80                                  // 00000000825C: 803C50FF 00000100
	s_cmp_lt_u32 s60, s81                                      // 000000008264: BF0A513C
	s_cselect_b32 s83, s83, 0                                  // 000000008268: 85538053
	s_cselect_b32 s4, s4, 0                                    // 00000000826C: 85048004
	v_mfma_f32_16x16x32_fp8_fp8 v[8:11], a[166:167], a[78:79], v[8:11]// 000000008270: D3F30008 1C229DA6
	s_add_u32 s24, s58, s24                                    // 000000008278: 8018183A
	s_addc_u32 s25, 0, s25                                     // 00000000827C: 82191980
	v_fma_f32 v180, v12, v4, v180                              // 000000008280: D1CB00B4 06D2090C
	v_fma_f32 v181, v13, v4, v181                              // 000000008288: D1CB00B5 06D6090D
	v_fma_f32 v182, v14, v4, v182                              // 000000008290: D1CB00B6 06DA090E
	v_fma_f32 v183, v15, v4, v183                              // 000000008298: D1CB00B7 06DE090F
	v_mfma_f32_16x16x32_fp8_fp8 v[12:15], a[168:169], a[72:73], 0// 0000000082A0: D3F3000C 1A0291A8
	s_add_u32 s20, s57, s20                                    // 0000000082A8: 80141439
	s_addc_u32 s21, 0, s21                                     // 0000000082AC: 82151580
	s_add_u32 s28, s3, s28                                     // 0000000082B0: 801C1C03
	s_addc_u32 s29, 0, s29                                     // 0000000082B4: 821D1D80
	v_mfma_f32_16x16x32_fp8_fp8 v[12:15], a[170:171], a[74:75], v[12:15]// 0000000082B8: D3F3000C 1C3295AA
	s_add_u32 s84, s83, s84                                    // 0000000082C0: 80545453
	s_addc_u32 s85, 0, s85                                     // 0000000082C4: 82555580
	v_mfma_f32_16x16x32_fp8_fp8 v[12:15], a[172:173], a[76:77], v[12:15]// 0000000082C8: D3F3000C 1C3299AC
	s_add_u32 s32, s4, s32                                     // 0000000082D0: 80202004
	s_addc_u32 s33, 0, s33                                     // 0000000082D4: 82212180
	v_mfma_f32_16x16x32_fp8_fp8 v[12:15], a[174:175], a[78:79], v[12:15]// 0000000082D8: D3F3000C 1C329DAE
	v_fma_f32 v200, v8, v6, v200                               // 0000000082E0: D1CB00C8 07220D08
	v_fma_f32 v201, v9, v6, v201                               // 0000000082E8: D1CB00C9 07260D09
	v_fma_f32 v202, v10, v6, v202                              // 0000000082F0: D1CB00CA 072A0D0A
	v_fma_f32 v203, v11, v6, v203                              // 0000000082F8: D1CB00CB 072E0D0B
	v_fma_f32 v220, v12, v6, v220                              // 000000008300: D1CB00DC 07720D0C
	v_fma_f32 v221, v13, v6, v221                              // 000000008308: D1CB00DD 07760D0D
	v_fma_f32 v222, v14, v6, v222                              // 000000008310: D1CB00DE 077A0D0E
	v_fma_f32 v223, v15, v6, v223                              // 000000008318: D1CB00DF 077E0D0F
	s_addk_i32 s80, 0x80                                       // 000000008320: B7500080
	s_cmp_lt_i32 s80, s81                                      // 000000008324: BF045150
	s_cbranch_scc0 label_164C                                  // 000000008328: BF840001
	s_branch label_0331                                        // 00000000832C: BF82ECE5

0000000000008330 <label_164C>:
	s_cmp_eq_u32 s88, 0                                        // 000000008330: BF068058
	s_cbranch_scc0 label_21E3                                  // 000000008334: BF840B95
	s_cmp_eq_u32 s89, 0                                        // 000000008338: BF068059
	s_cbranch_scc1 label_1975                                  // 00000000833C: BF850325
	v_mov_b32_e32 v8, v1                                       // 000000008340: 7E100301
	v_mov_b32_e32 v9, v1                                       // 000000008344: 7E120301
	s_mov_b32 s60, s6                                          // 000000008348: BEBC0006
	s_mov_b32 s61, s6                                          // 00000000834C: BEBD0006
	v_pk_mul_f32 v[4:5], v[64:65], v[64:65]                    // 000000008350: D3B14004 18028140
	v_pk_mul_f32 v[6:7], v[66:67], v[66:67]                    // 000000008358: D3B14006 18028542
	v_pk_fma_f32 v[4:5], v[4:5], s[78:79], v[8:9]              // 000000008360: D3B04004 1C209D04
	v_pk_fma_f32 v[6:7], v[6:7], s[78:79], v[8:9]              // 000000008368: D3B04006 1C209D06
	v_pk_mul_f32 v[4:5], v[4:5], v[64:65]                      // 000000008370: D3B14004 18028104
	v_pk_mul_f32 v[6:7], v[6:7], v[66:67]                      // 000000008378: D3B14006 18028506
	v_pk_mul_f32 v[4:5], v[4:5], s[60:61]                      // 000000008380: D3B14004 18007904
	v_pk_mul_f32 v[6:7], v[6:7], s[60:61]                      // 000000008388: D3B14006 18007906
	v_exp_f32_e32 v4, v4                                       // 000000008390: 7E084104
	v_exp_f32_e32 v5, v5                                       // 000000008394: 7E0A4105
	v_exp_f32_e32 v6, v6                                       // 000000008398: 7E0C4106
	v_exp_f32_e32 v7, v7                                       // 00000000839C: 7E0E4107
	v_add_f32_e64 v4, v4, 1.0                                  // 0000000083A0: D1010004 0001E504
	v_add_f32_e64 v5, v5, 1.0                                  // 0000000083A8: D1010005 0001E505
	v_add_f32_e64 v6, v6, 1.0                                  // 0000000083B0: D1010006 0001E506
	v_add_f32_e64 v7, v7, 1.0                                  // 0000000083B8: D1010007 0001E507
	v_rcp_f32_e32 v4, v4                                       // 0000000083C0: 7E084504
	v_rcp_f32_e32 v5, v5                                       // 0000000083C4: 7E0A4505
	v_rcp_f32_e32 v6, v6                                       // 0000000083C8: 7E0C4506
	v_rcp_f32_e32 v7, v7                                       // 0000000083CC: 7E0E4507
	v_mul_f32_e32 v64, v64, v4                                 // 0000000083D0: 0A800940
	v_mul_f32_e32 v65, v65, v5                                 // 0000000083D4: 0A820B41
	v_mul_f32_e32 v66, v66, v6                                 // 0000000083D8: 0A840D42
	v_mul_f32_e32 v67, v67, v7                                 // 0000000083DC: 0A860F43
	v_mul_f32_e32 v64, v64, v144                               // 0000000083E0: 0A812140
	v_mul_f32_e32 v65, v65, v145                               // 0000000083E4: 0A832341
	v_mul_f32_e32 v66, v66, v146                               // 0000000083E8: 0A852542
	v_mul_f32_e32 v67, v67, v147                               // 0000000083EC: 0A872743
	v_pk_mul_f32 v[4:5], v[68:69], v[68:69]                    // 0000000083F0: D3B14004 18028944
	v_pk_mul_f32 v[6:7], v[70:71], v[70:71]                    // 0000000083F8: D3B14006 18028D46
	v_pk_fma_f32 v[4:5], v[4:5], s[78:79], v[8:9]              // 000000008400: D3B04004 1C209D04
	v_pk_fma_f32 v[6:7], v[6:7], s[78:79], v[8:9]              // 000000008408: D3B04006 1C209D06
	v_pk_mul_f32 v[4:5], v[4:5], v[68:69]                      // 000000008410: D3B14004 18028904
	v_pk_mul_f32 v[6:7], v[6:7], v[70:71]                      // 000000008418: D3B14006 18028D06
	v_pk_mul_f32 v[4:5], v[4:5], s[60:61]                      // 000000008420: D3B14004 18007904
	v_pk_mul_f32 v[6:7], v[6:7], s[60:61]                      // 000000008428: D3B14006 18007906
	v_exp_f32_e32 v4, v4                                       // 000000008430: 7E084104
	v_exp_f32_e32 v5, v5                                       // 000000008434: 7E0A4105
	v_exp_f32_e32 v6, v6                                       // 000000008438: 7E0C4106
	v_exp_f32_e32 v7, v7                                       // 00000000843C: 7E0E4107
	v_add_f32_e64 v4, v4, 1.0                                  // 000000008440: D1010004 0001E504
	v_add_f32_e64 v5, v5, 1.0                                  // 000000008448: D1010005 0001E505
	v_add_f32_e64 v6, v6, 1.0                                  // 000000008450: D1010006 0001E506
	v_add_f32_e64 v7, v7, 1.0                                  // 000000008458: D1010007 0001E507
	v_rcp_f32_e32 v4, v4                                       // 000000008460: 7E084504
	v_rcp_f32_e32 v5, v5                                       // 000000008464: 7E0A4505
	v_rcp_f32_e32 v6, v6                                       // 000000008468: 7E0C4506
	v_rcp_f32_e32 v7, v7                                       // 00000000846C: 7E0E4507
	v_mul_f32_e32 v68, v68, v4                                 // 000000008470: 0A880944
	v_mul_f32_e32 v69, v69, v5                                 // 000000008474: 0A8A0B45
	v_mul_f32_e32 v70, v70, v6                                 // 000000008478: 0A8C0D46
	v_mul_f32_e32 v71, v71, v7                                 // 00000000847C: 0A8E0F47
	v_mul_f32_e32 v68, v68, v148                               // 000000008480: 0A892944
	v_mul_f32_e32 v69, v69, v149                               // 000000008484: 0A8B2B45
	v_mul_f32_e32 v70, v70, v150                               // 000000008488: 0A8D2D46
	v_mul_f32_e32 v71, v71, v151                               // 00000000848C: 0A8F2F47
	v_pk_mul_f32 v[4:5], v[72:73], v[72:73]                    // 000000008490: D3B14004 18029148
	v_pk_mul_f32 v[6:7], v[74:75], v[74:75]                    // 000000008498: D3B14006 1802954A
	v_pk_fma_f32 v[4:5], v[4:5], s[78:79], v[8:9]              // 0000000084A0: D3B04004 1C209D04
	v_pk_fma_f32 v[6:7], v[6:7], s[78:79], v[8:9]              // 0000000084A8: D3B04006 1C209D06
	v_pk_mul_f32 v[4:5], v[4:5], v[72:73]                      // 0000000084B0: D3B14004 18029104
	v_pk_mul_f32 v[6:7], v[6:7], v[74:75]                      // 0000000084B8: D3B14006 18029506
	v_pk_mul_f32 v[4:5], v[4:5], s[60:61]                      // 0000000084C0: D3B14004 18007904
	v_pk_mul_f32 v[6:7], v[6:7], s[60:61]                      // 0000000084C8: D3B14006 18007906
	v_exp_f32_e32 v4, v4                                       // 0000000084D0: 7E084104
	v_exp_f32_e32 v5, v5                                       // 0000000084D4: 7E0A4105
	v_exp_f32_e32 v6, v6                                       // 0000000084D8: 7E0C4106
	v_exp_f32_e32 v7, v7                                       // 0000000084DC: 7E0E4107
	v_add_f32_e64 v4, v4, 1.0                                  // 0000000084E0: D1010004 0001E504
	v_add_f32_e64 v5, v5, 1.0                                  // 0000000084E8: D1010005 0001E505
	v_add_f32_e64 v6, v6, 1.0                                  // 0000000084F0: D1010006 0001E506
	v_add_f32_e64 v7, v7, 1.0                                  // 0000000084F8: D1010007 0001E507
	v_rcp_f32_e32 v4, v4                                       // 000000008500: 7E084504
	v_rcp_f32_e32 v5, v5                                       // 000000008504: 7E0A4505
	v_rcp_f32_e32 v6, v6                                       // 000000008508: 7E0C4506
	v_rcp_f32_e32 v7, v7                                       // 00000000850C: 7E0E4507
	v_mul_f32_e32 v72, v72, v4                                 // 000000008510: 0A900948
	v_mul_f32_e32 v73, v73, v5                                 // 000000008514: 0A920B49
	v_mul_f32_e32 v74, v74, v6                                 // 000000008518: 0A940D4A
	v_mul_f32_e32 v75, v75, v7                                 // 00000000851C: 0A960F4B
	v_mul_f32_e32 v72, v72, v152                               // 000000008520: 0A913148
	v_mul_f32_e32 v73, v73, v153                               // 000000008524: 0A933349
	v_mul_f32_e32 v74, v74, v154                               // 000000008528: 0A95354A
	v_mul_f32_e32 v75, v75, v155                               // 00000000852C: 0A97374B
	v_pk_mul_f32 v[4:5], v[76:77], v[76:77]                    // 000000008530: D3B14004 1802994C
	v_pk_mul_f32 v[6:7], v[78:79], v[78:79]                    // 000000008538: D3B14006 18029D4E
	v_pk_fma_f32 v[4:5], v[4:5], s[78:79], v[8:9]              // 000000008540: D3B04004 1C209D04
	v_pk_fma_f32 v[6:7], v[6:7], s[78:79], v[8:9]              // 000000008548: D3B04006 1C209D06
	v_pk_mul_f32 v[4:5], v[4:5], v[76:77]                      // 000000008550: D3B14004 18029904
	v_pk_mul_f32 v[6:7], v[6:7], v[78:79]                      // 000000008558: D3B14006 18029D06
	v_pk_mul_f32 v[4:5], v[4:5], s[60:61]                      // 000000008560: D3B14004 18007904
	v_pk_mul_f32 v[6:7], v[6:7], s[60:61]                      // 000000008568: D3B14006 18007906
	v_exp_f32_e32 v4, v4                                       // 000000008570: 7E084104
	v_exp_f32_e32 v5, v5                                       // 000000008574: 7E0A4105
	v_exp_f32_e32 v6, v6                                       // 000000008578: 7E0C4106
	v_exp_f32_e32 v7, v7                                       // 00000000857C: 7E0E4107
	v_add_f32_e64 v4, v4, 1.0                                  // 000000008580: D1010004 0001E504
	v_add_f32_e64 v5, v5, 1.0                                  // 000000008588: D1010005 0001E505
	v_add_f32_e64 v6, v6, 1.0                                  // 000000008590: D1010006 0001E506
	v_add_f32_e64 v7, v7, 1.0                                  // 000000008598: D1010007 0001E507
	v_rcp_f32_e32 v4, v4                                       // 0000000085A0: 7E084504
	v_rcp_f32_e32 v5, v5                                       // 0000000085A4: 7E0A4505
	v_rcp_f32_e32 v6, v6                                       // 0000000085A8: 7E0C4506
	v_rcp_f32_e32 v7, v7                                       // 0000000085AC: 7E0E4507
	v_mul_f32_e32 v76, v76, v4                                 // 0000000085B0: 0A98094C
	v_mul_f32_e32 v77, v77, v5                                 // 0000000085B4: 0A9A0B4D
	v_mul_f32_e32 v78, v78, v6                                 // 0000000085B8: 0A9C0D4E
	v_mul_f32_e32 v79, v79, v7                                 // 0000000085BC: 0A9E0F4F
	v_mul_f32_e32 v76, v76, v156                               // 0000000085C0: 0A99394C
	v_mul_f32_e32 v77, v77, v157                               // 0000000085C4: 0A9B3B4D
	v_mul_f32_e32 v78, v78, v158                               // 0000000085C8: 0A9D3D4E
	v_mul_f32_e32 v79, v79, v159                               // 0000000085CC: 0A9F3F4F
	v_pk_mul_f32 v[4:5], v[80:81], v[80:81]                    // 0000000085D0: D3B14004 1802A150
	v_pk_mul_f32 v[6:7], v[82:83], v[82:83]                    // 0000000085D8: D3B14006 1802A552
	v_pk_fma_f32 v[4:5], v[4:5], s[78:79], v[8:9]              // 0000000085E0: D3B04004 1C209D04
	v_pk_fma_f32 v[6:7], v[6:7], s[78:79], v[8:9]              // 0000000085E8: D3B04006 1C209D06
	v_pk_mul_f32 v[4:5], v[4:5], v[80:81]                      // 0000000085F0: D3B14004 1802A104
	v_pk_mul_f32 v[6:7], v[6:7], v[82:83]                      // 0000000085F8: D3B14006 1802A506
	v_pk_mul_f32 v[4:5], v[4:5], s[60:61]                      // 000000008600: D3B14004 18007904
	v_pk_mul_f32 v[6:7], v[6:7], s[60:61]                      // 000000008608: D3B14006 18007906
	v_exp_f32_e32 v4, v4                                       // 000000008610: 7E084104
	v_exp_f32_e32 v5, v5                                       // 000000008614: 7E0A4105
	v_exp_f32_e32 v6, v6                                       // 000000008618: 7E0C4106
	v_exp_f32_e32 v7, v7                                       // 00000000861C: 7E0E4107
	v_add_f32_e64 v4, v4, 1.0                                  // 000000008620: D1010004 0001E504
	v_add_f32_e64 v5, v5, 1.0                                  // 000000008628: D1010005 0001E505
	v_add_f32_e64 v6, v6, 1.0                                  // 000000008630: D1010006 0001E506
	v_add_f32_e64 v7, v7, 1.0                                  // 000000008638: D1010007 0001E507
	v_rcp_f32_e32 v4, v4                                       // 000000008640: 7E084504
	v_rcp_f32_e32 v5, v5                                       // 000000008644: 7E0A4505
	v_rcp_f32_e32 v6, v6                                       // 000000008648: 7E0C4506
	v_rcp_f32_e32 v7, v7                                       // 00000000864C: 7E0E4507
	v_mul_f32_e32 v80, v80, v4                                 // 000000008650: 0AA00950
	v_mul_f32_e32 v81, v81, v5                                 // 000000008654: 0AA20B51
	v_mul_f32_e32 v82, v82, v6                                 // 000000008658: 0AA40D52
	v_mul_f32_e32 v83, v83, v7                                 // 00000000865C: 0AA60F53
	v_mul_f32_e32 v80, v80, v160                               // 000000008660: 0AA14150
	v_mul_f32_e32 v81, v81, v161                               // 000000008664: 0AA34351
	v_mul_f32_e32 v82, v82, v162                               // 000000008668: 0AA54552
	v_mul_f32_e32 v83, v83, v163                               // 00000000866C: 0AA74753
	v_pk_mul_f32 v[4:5], v[84:85], v[84:85]                    // 000000008670: D3B14004 1802A954
	v_pk_mul_f32 v[6:7], v[86:87], v[86:87]                    // 000000008678: D3B14006 1802AD56
	v_pk_fma_f32 v[4:5], v[4:5], s[78:79], v[8:9]              // 000000008680: D3B04004 1C209D04
	v_pk_fma_f32 v[6:7], v[6:7], s[78:79], v[8:9]              // 000000008688: D3B04006 1C209D06
	v_pk_mul_f32 v[4:5], v[4:5], v[84:85]                      // 000000008690: D3B14004 1802A904
	v_pk_mul_f32 v[6:7], v[6:7], v[86:87]                      // 000000008698: D3B14006 1802AD06
	v_pk_mul_f32 v[4:5], v[4:5], s[60:61]                      // 0000000086A0: D3B14004 18007904
	v_pk_mul_f32 v[6:7], v[6:7], s[60:61]                      // 0000000086A8: D3B14006 18007906
	v_exp_f32_e32 v4, v4                                       // 0000000086B0: 7E084104
	v_exp_f32_e32 v5, v5                                       // 0000000086B4: 7E0A4105
	v_exp_f32_e32 v6, v6                                       // 0000000086B8: 7E0C4106
	v_exp_f32_e32 v7, v7                                       // 0000000086BC: 7E0E4107
	v_add_f32_e64 v4, v4, 1.0                                  // 0000000086C0: D1010004 0001E504
	v_add_f32_e64 v5, v5, 1.0                                  // 0000000086C8: D1010005 0001E505
	v_add_f32_e64 v6, v6, 1.0                                  // 0000000086D0: D1010006 0001E506
	v_add_f32_e64 v7, v7, 1.0                                  // 0000000086D8: D1010007 0001E507
	v_rcp_f32_e32 v4, v4                                       // 0000000086E0: 7E084504
	v_rcp_f32_e32 v5, v5                                       // 0000000086E4: 7E0A4505
	v_rcp_f32_e32 v6, v6                                       // 0000000086E8: 7E0C4506
	v_rcp_f32_e32 v7, v7                                       // 0000000086EC: 7E0E4507
	v_mul_f32_e32 v84, v84, v4                                 // 0000000086F0: 0AA80954
	v_mul_f32_e32 v85, v85, v5                                 // 0000000086F4: 0AAA0B55
	v_mul_f32_e32 v86, v86, v6                                 // 0000000086F8: 0AAC0D56
	v_mul_f32_e32 v87, v87, v7                                 // 0000000086FC: 0AAE0F57
	v_mul_f32_e32 v84, v84, v164                               // 000000008700: 0AA94954
	v_mul_f32_e32 v85, v85, v165                               // 000000008704: 0AAB4B55
	v_mul_f32_e32 v86, v86, v166                               // 000000008708: 0AAD4D56
	v_mul_f32_e32 v87, v87, v167                               // 00000000870C: 0AAF4F57
	v_pk_mul_f32 v[4:5], v[88:89], v[88:89]                    // 000000008710: D3B14004 1802B158
	v_pk_mul_f32 v[6:7], v[90:91], v[90:91]                    // 000000008718: D3B14006 1802B55A
	v_pk_fma_f32 v[4:5], v[4:5], s[78:79], v[8:9]              // 000000008720: D3B04004 1C209D04
	v_pk_fma_f32 v[6:7], v[6:7], s[78:79], v[8:9]              // 000000008728: D3B04006 1C209D06
	v_pk_mul_f32 v[4:5], v[4:5], v[88:89]                      // 000000008730: D3B14004 1802B104
	v_pk_mul_f32 v[6:7], v[6:7], v[90:91]                      // 000000008738: D3B14006 1802B506
	v_pk_mul_f32 v[4:5], v[4:5], s[60:61]                      // 000000008740: D3B14004 18007904
	v_pk_mul_f32 v[6:7], v[6:7], s[60:61]                      // 000000008748: D3B14006 18007906
	v_exp_f32_e32 v4, v4                                       // 000000008750: 7E084104
	v_exp_f32_e32 v5, v5                                       // 000000008754: 7E0A4105
	v_exp_f32_e32 v6, v6                                       // 000000008758: 7E0C4106
	v_exp_f32_e32 v7, v7                                       // 00000000875C: 7E0E4107
	v_add_f32_e64 v4, v4, 1.0                                  // 000000008760: D1010004 0001E504
	v_add_f32_e64 v5, v5, 1.0                                  // 000000008768: D1010005 0001E505
	v_add_f32_e64 v6, v6, 1.0                                  // 000000008770: D1010006 0001E506
	v_add_f32_e64 v7, v7, 1.0                                  // 000000008778: D1010007 0001E507
	v_rcp_f32_e32 v4, v4                                       // 000000008780: 7E084504
	v_rcp_f32_e32 v5, v5                                       // 000000008784: 7E0A4505
	v_rcp_f32_e32 v6, v6                                       // 000000008788: 7E0C4506
	v_rcp_f32_e32 v7, v7                                       // 00000000878C: 7E0E4507
	v_mul_f32_e32 v88, v88, v4                                 // 000000008790: 0AB00958
	v_mul_f32_e32 v89, v89, v5                                 // 000000008794: 0AB20B59
	v_mul_f32_e32 v90, v90, v6                                 // 000000008798: 0AB40D5A
	v_mul_f32_e32 v91, v91, v7                                 // 00000000879C: 0AB60F5B
	v_mul_f32_e32 v88, v88, v168                               // 0000000087A0: 0AB15158
	v_mul_f32_e32 v89, v89, v169                               // 0000000087A4: 0AB35359
	v_mul_f32_e32 v90, v90, v170                               // 0000000087A8: 0AB5555A
	v_mul_f32_e32 v91, v91, v171                               // 0000000087AC: 0AB7575B
	v_pk_mul_f32 v[4:5], v[92:93], v[92:93]                    // 0000000087B0: D3B14004 1802B95C
	v_pk_mul_f32 v[6:7], v[94:95], v[94:95]                    // 0000000087B8: D3B14006 1802BD5E
	v_pk_fma_f32 v[4:5], v[4:5], s[78:79], v[8:9]              // 0000000087C0: D3B04004 1C209D04
	v_pk_fma_f32 v[6:7], v[6:7], s[78:79], v[8:9]              // 0000000087C8: D3B04006 1C209D06
	v_pk_mul_f32 v[4:5], v[4:5], v[92:93]                      // 0000000087D0: D3B14004 1802B904
	v_pk_mul_f32 v[6:7], v[6:7], v[94:95]                      // 0000000087D8: D3B14006 1802BD06
	v_pk_mul_f32 v[4:5], v[4:5], s[60:61]                      // 0000000087E0: D3B14004 18007904
	v_pk_mul_f32 v[6:7], v[6:7], s[60:61]                      // 0000000087E8: D3B14006 18007906
	v_exp_f32_e32 v4, v4                                       // 0000000087F0: 7E084104
	v_exp_f32_e32 v5, v5                                       // 0000000087F4: 7E0A4105
	v_exp_f32_e32 v6, v6                                       // 0000000087F8: 7E0C4106
	v_exp_f32_e32 v7, v7                                       // 0000000087FC: 7E0E4107
	v_add_f32_e64 v4, v4, 1.0                                  // 000000008800: D1010004 0001E504
	v_add_f32_e64 v5, v5, 1.0                                  // 000000008808: D1010005 0001E505
	v_add_f32_e64 v6, v6, 1.0                                  // 000000008810: D1010006 0001E506
	v_add_f32_e64 v7, v7, 1.0                                  // 000000008818: D1010007 0001E507
	v_rcp_f32_e32 v4, v4                                       // 000000008820: 7E084504
	v_rcp_f32_e32 v5, v5                                       // 000000008824: 7E0A4505
	v_rcp_f32_e32 v6, v6                                       // 000000008828: 7E0C4506
	v_rcp_f32_e32 v7, v7                                       // 00000000882C: 7E0E4507
	v_mul_f32_e32 v92, v92, v4                                 // 000000008830: 0AB8095C
	v_mul_f32_e32 v93, v93, v5                                 // 000000008834: 0ABA0B5D
	v_mul_f32_e32 v94, v94, v6                                 // 000000008838: 0ABC0D5E
	v_mul_f32_e32 v95, v95, v7                                 // 00000000883C: 0ABE0F5F
	v_mul_f32_e32 v92, v92, v172                               // 000000008840: 0AB9595C
	v_mul_f32_e32 v93, v93, v173                               // 000000008844: 0ABB5B5D
	v_mul_f32_e32 v94, v94, v174                               // 000000008848: 0ABD5D5E
	v_mul_f32_e32 v95, v95, v175                               // 00000000884C: 0ABF5F5F
	v_pk_mul_f32 v[4:5], v[96:97], v[96:97]                    // 000000008850: D3B14004 1802C160
	v_pk_mul_f32 v[6:7], v[98:99], v[98:99]                    // 000000008858: D3B14006 1802C562
	v_pk_fma_f32 v[4:5], v[4:5], s[78:79], v[8:9]              // 000000008860: D3B04004 1C209D04
	v_pk_fma_f32 v[6:7], v[6:7], s[78:79], v[8:9]              // 000000008868: D3B04006 1C209D06
	v_pk_mul_f32 v[4:5], v[4:5], v[96:97]                      // 000000008870: D3B14004 1802C104
	v_pk_mul_f32 v[6:7], v[6:7], v[98:99]                      // 000000008878: D3B14006 1802C506
	v_pk_mul_f32 v[4:5], v[4:5], s[60:61]                      // 000000008880: D3B14004 18007904
	v_pk_mul_f32 v[6:7], v[6:7], s[60:61]                      // 000000008888: D3B14006 18007906
	v_exp_f32_e32 v4, v4                                       // 000000008890: 7E084104
	v_exp_f32_e32 v5, v5                                       // 000000008894: 7E0A4105
	v_exp_f32_e32 v6, v6                                       // 000000008898: 7E0C4106
	v_exp_f32_e32 v7, v7                                       // 00000000889C: 7E0E4107
	v_add_f32_e64 v4, v4, 1.0                                  // 0000000088A0: D1010004 0001E504
	v_add_f32_e64 v5, v5, 1.0                                  // 0000000088A8: D1010005 0001E505
	v_add_f32_e64 v6, v6, 1.0                                  // 0000000088B0: D1010006 0001E506
	v_add_f32_e64 v7, v7, 1.0                                  // 0000000088B8: D1010007 0001E507
	v_rcp_f32_e32 v4, v4                                       // 0000000088C0: 7E084504
	v_rcp_f32_e32 v5, v5                                       // 0000000088C4: 7E0A4505
	v_rcp_f32_e32 v6, v6                                       // 0000000088C8: 7E0C4506
	v_rcp_f32_e32 v7, v7                                       // 0000000088CC: 7E0E4507
	v_mul_f32_e32 v96, v96, v4                                 // 0000000088D0: 0AC00960
	v_mul_f32_e32 v97, v97, v5                                 // 0000000088D4: 0AC20B61
	v_mul_f32_e32 v98, v98, v6                                 // 0000000088D8: 0AC40D62
	v_mul_f32_e32 v99, v99, v7                                 // 0000000088DC: 0AC60F63
	v_mul_f32_e32 v96, v96, v176                               // 0000000088E0: 0AC16160
	v_mul_f32_e32 v97, v97, v177                               // 0000000088E4: 0AC36361
	v_mul_f32_e32 v98, v98, v178                               // 0000000088E8: 0AC56562
	v_mul_f32_e32 v99, v99, v179                               // 0000000088EC: 0AC76763
	v_pk_mul_f32 v[4:5], v[100:101], v[100:101]                // 0000000088F0: D3B14004 1802C964
	v_pk_mul_f32 v[6:7], v[102:103], v[102:103]                // 0000000088F8: D3B14006 1802CD66
	v_pk_fma_f32 v[4:5], v[4:5], s[78:79], v[8:9]              // 000000008900: D3B04004 1C209D04
	v_pk_fma_f32 v[6:7], v[6:7], s[78:79], v[8:9]              // 000000008908: D3B04006 1C209D06
	v_pk_mul_f32 v[4:5], v[4:5], v[100:101]                    // 000000008910: D3B14004 1802C904
	v_pk_mul_f32 v[6:7], v[6:7], v[102:103]                    // 000000008918: D3B14006 1802CD06
	v_pk_mul_f32 v[4:5], v[4:5], s[60:61]                      // 000000008920: D3B14004 18007904
	v_pk_mul_f32 v[6:7], v[6:7], s[60:61]                      // 000000008928: D3B14006 18007906
	v_exp_f32_e32 v4, v4                                       // 000000008930: 7E084104
	v_exp_f32_e32 v5, v5                                       // 000000008934: 7E0A4105
	v_exp_f32_e32 v6, v6                                       // 000000008938: 7E0C4106
	v_exp_f32_e32 v7, v7                                       // 00000000893C: 7E0E4107
	v_add_f32_e64 v4, v4, 1.0                                  // 000000008940: D1010004 0001E504
	v_add_f32_e64 v5, v5, 1.0                                  // 000000008948: D1010005 0001E505
	v_add_f32_e64 v6, v6, 1.0                                  // 000000008950: D1010006 0001E506
	v_add_f32_e64 v7, v7, 1.0                                  // 000000008958: D1010007 0001E507
	v_rcp_f32_e32 v4, v4                                       // 000000008960: 7E084504
	v_rcp_f32_e32 v5, v5                                       // 000000008964: 7E0A4505
	v_rcp_f32_e32 v6, v6                                       // 000000008968: 7E0C4506
	v_rcp_f32_e32 v7, v7                                       // 00000000896C: 7E0E4507
	v_mul_f32_e32 v100, v100, v4                               // 000000008970: 0AC80964
	v_mul_f32_e32 v101, v101, v5                               // 000000008974: 0ACA0B65
	v_mul_f32_e32 v102, v102, v6                               // 000000008978: 0ACC0D66
	v_mul_f32_e32 v103, v103, v7                               // 00000000897C: 0ACE0F67
	v_mul_f32_e32 v100, v100, v180                             // 000000008980: 0AC96964
	v_mul_f32_e32 v101, v101, v181                             // 000000008984: 0ACB6B65
	v_mul_f32_e32 v102, v102, v182                             // 000000008988: 0ACD6D66
	v_mul_f32_e32 v103, v103, v183                             // 00000000898C: 0ACF6F67
	v_pk_mul_f32 v[4:5], v[104:105], v[104:105]                // 000000008990: D3B14004 1802D168
	v_pk_mul_f32 v[6:7], v[106:107], v[106:107]                // 000000008998: D3B14006 1802D56A
	v_pk_fma_f32 v[4:5], v[4:5], s[78:79], v[8:9]              // 0000000089A0: D3B04004 1C209D04
	v_pk_fma_f32 v[6:7], v[6:7], s[78:79], v[8:9]              // 0000000089A8: D3B04006 1C209D06
	v_pk_mul_f32 v[4:5], v[4:5], v[104:105]                    // 0000000089B0: D3B14004 1802D104
	v_pk_mul_f32 v[6:7], v[6:7], v[106:107]                    // 0000000089B8: D3B14006 1802D506
	v_pk_mul_f32 v[4:5], v[4:5], s[60:61]                      // 0000000089C0: D3B14004 18007904
	v_pk_mul_f32 v[6:7], v[6:7], s[60:61]                      // 0000000089C8: D3B14006 18007906
	v_exp_f32_e32 v4, v4                                       // 0000000089D0: 7E084104
	v_exp_f32_e32 v5, v5                                       // 0000000089D4: 7E0A4105
	v_exp_f32_e32 v6, v6                                       // 0000000089D8: 7E0C4106
	v_exp_f32_e32 v7, v7                                       // 0000000089DC: 7E0E4107
	v_add_f32_e64 v4, v4, 1.0                                  // 0000000089E0: D1010004 0001E504
	v_add_f32_e64 v5, v5, 1.0                                  // 0000000089E8: D1010005 0001E505
	v_add_f32_e64 v6, v6, 1.0                                  // 0000000089F0: D1010006 0001E506
	v_add_f32_e64 v7, v7, 1.0                                  // 0000000089F8: D1010007 0001E507
	v_rcp_f32_e32 v4, v4                                       // 000000008A00: 7E084504
	v_rcp_f32_e32 v5, v5                                       // 000000008A04: 7E0A4505
	v_rcp_f32_e32 v6, v6                                       // 000000008A08: 7E0C4506
	v_rcp_f32_e32 v7, v7                                       // 000000008A0C: 7E0E4507
	v_mul_f32_e32 v104, v104, v4                               // 000000008A10: 0AD00968
	v_mul_f32_e32 v105, v105, v5                               // 000000008A14: 0AD20B69
	v_mul_f32_e32 v106, v106, v6                               // 000000008A18: 0AD40D6A
	v_mul_f32_e32 v107, v107, v7                               // 000000008A1C: 0AD60F6B
	v_mul_f32_e32 v104, v104, v184                             // 000000008A20: 0AD17168
	v_mul_f32_e32 v105, v105, v185                             // 000000008A24: 0AD37369
	v_mul_f32_e32 v106, v106, v186                             // 000000008A28: 0AD5756A
	v_mul_f32_e32 v107, v107, v187                             // 000000008A2C: 0AD7776B
	v_pk_mul_f32 v[4:5], v[108:109], v[108:109]                // 000000008A30: D3B14004 1802D96C
	v_pk_mul_f32 v[6:7], v[110:111], v[110:111]                // 000000008A38: D3B14006 1802DD6E
	v_pk_fma_f32 v[4:5], v[4:5], s[78:79], v[8:9]              // 000000008A40: D3B04004 1C209D04
	v_pk_fma_f32 v[6:7], v[6:7], s[78:79], v[8:9]              // 000000008A48: D3B04006 1C209D06
	v_pk_mul_f32 v[4:5], v[4:5], v[108:109]                    // 000000008A50: D3B14004 1802D904
	v_pk_mul_f32 v[6:7], v[6:7], v[110:111]                    // 000000008A58: D3B14006 1802DD06
	v_pk_mul_f32 v[4:5], v[4:5], s[60:61]                      // 000000008A60: D3B14004 18007904
	v_pk_mul_f32 v[6:7], v[6:7], s[60:61]                      // 000000008A68: D3B14006 18007906
	v_exp_f32_e32 v4, v4                                       // 000000008A70: 7E084104
	v_exp_f32_e32 v5, v5                                       // 000000008A74: 7E0A4105
	v_exp_f32_e32 v6, v6                                       // 000000008A78: 7E0C4106
	v_exp_f32_e32 v7, v7                                       // 000000008A7C: 7E0E4107
	v_add_f32_e64 v4, v4, 1.0                                  // 000000008A80: D1010004 0001E504
	v_add_f32_e64 v5, v5, 1.0                                  // 000000008A88: D1010005 0001E505
	v_add_f32_e64 v6, v6, 1.0                                  // 000000008A90: D1010006 0001E506
	v_add_f32_e64 v7, v7, 1.0                                  // 000000008A98: D1010007 0001E507
	v_rcp_f32_e32 v4, v4                                       // 000000008AA0: 7E084504
	v_rcp_f32_e32 v5, v5                                       // 000000008AA4: 7E0A4505
	v_rcp_f32_e32 v6, v6                                       // 000000008AA8: 7E0C4506
	v_rcp_f32_e32 v7, v7                                       // 000000008AAC: 7E0E4507
	v_mul_f32_e32 v108, v108, v4                               // 000000008AB0: 0AD8096C
	v_mul_f32_e32 v109, v109, v5                               // 000000008AB4: 0ADA0B6D
	v_mul_f32_e32 v110, v110, v6                               // 000000008AB8: 0ADC0D6E
	v_mul_f32_e32 v111, v111, v7                               // 000000008ABC: 0ADE0F6F
	v_mul_f32_e32 v108, v108, v188                             // 000000008AC0: 0AD9796C
	v_mul_f32_e32 v109, v109, v189                             // 000000008AC4: 0ADB7B6D
	v_mul_f32_e32 v110, v110, v190                             // 000000008AC8: 0ADD7D6E
	v_mul_f32_e32 v111, v111, v191                             // 000000008ACC: 0ADF7F6F
	v_pk_mul_f32 v[4:5], v[112:113], v[112:113]                // 000000008AD0: D3B14004 1802E170
	v_pk_mul_f32 v[6:7], v[114:115], v[114:115]                // 000000008AD8: D3B14006 1802E572
	v_pk_fma_f32 v[4:5], v[4:5], s[78:79], v[8:9]              // 000000008AE0: D3B04004 1C209D04
	v_pk_fma_f32 v[6:7], v[6:7], s[78:79], v[8:9]              // 000000008AE8: D3B04006 1C209D06
	v_pk_mul_f32 v[4:5], v[4:5], v[112:113]                    // 000000008AF0: D3B14004 1802E104
	v_pk_mul_f32 v[6:7], v[6:7], v[114:115]                    // 000000008AF8: D3B14006 1802E506
	v_pk_mul_f32 v[4:5], v[4:5], s[60:61]                      // 000000008B00: D3B14004 18007904
	v_pk_mul_f32 v[6:7], v[6:7], s[60:61]                      // 000000008B08: D3B14006 18007906
	v_exp_f32_e32 v4, v4                                       // 000000008B10: 7E084104
	v_exp_f32_e32 v5, v5                                       // 000000008B14: 7E0A4105
	v_exp_f32_e32 v6, v6                                       // 000000008B18: 7E0C4106
	v_exp_f32_e32 v7, v7                                       // 000000008B1C: 7E0E4107
	v_add_f32_e64 v4, v4, 1.0                                  // 000000008B20: D1010004 0001E504
	v_add_f32_e64 v5, v5, 1.0                                  // 000000008B28: D1010005 0001E505
	v_add_f32_e64 v6, v6, 1.0                                  // 000000008B30: D1010006 0001E506
	v_add_f32_e64 v7, v7, 1.0                                  // 000000008B38: D1010007 0001E507
	v_rcp_f32_e32 v4, v4                                       // 000000008B40: 7E084504
	v_rcp_f32_e32 v5, v5                                       // 000000008B44: 7E0A4505
	v_rcp_f32_e32 v6, v6                                       // 000000008B48: 7E0C4506
	v_rcp_f32_e32 v7, v7                                       // 000000008B4C: 7E0E4507
	v_mul_f32_e32 v112, v112, v4                               // 000000008B50: 0AE00970
	v_mul_f32_e32 v113, v113, v5                               // 000000008B54: 0AE20B71
	v_mul_f32_e32 v114, v114, v6                               // 000000008B58: 0AE40D72
	v_mul_f32_e32 v115, v115, v7                               // 000000008B5C: 0AE60F73
	v_mul_f32_e32 v112, v112, v192                             // 000000008B60: 0AE18170
	v_mul_f32_e32 v113, v113, v193                             // 000000008B64: 0AE38371
	v_mul_f32_e32 v114, v114, v194                             // 000000008B68: 0AE58572
	v_mul_f32_e32 v115, v115, v195                             // 000000008B6C: 0AE78773
	v_pk_mul_f32 v[4:5], v[116:117], v[116:117]                // 000000008B70: D3B14004 1802E974
	v_pk_mul_f32 v[6:7], v[118:119], v[118:119]                // 000000008B78: D3B14006 1802ED76
	v_pk_fma_f32 v[4:5], v[4:5], s[78:79], v[8:9]              // 000000008B80: D3B04004 1C209D04
	v_pk_fma_f32 v[6:7], v[6:7], s[78:79], v[8:9]              // 000000008B88: D3B04006 1C209D06
	v_pk_mul_f32 v[4:5], v[4:5], v[116:117]                    // 000000008B90: D3B14004 1802E904
	v_pk_mul_f32 v[6:7], v[6:7], v[118:119]                    // 000000008B98: D3B14006 1802ED06
	v_pk_mul_f32 v[4:5], v[4:5], s[60:61]                      // 000000008BA0: D3B14004 18007904
	v_pk_mul_f32 v[6:7], v[6:7], s[60:61]                      // 000000008BA8: D3B14006 18007906
	v_exp_f32_e32 v4, v4                                       // 000000008BB0: 7E084104
	v_exp_f32_e32 v5, v5                                       // 000000008BB4: 7E0A4105
	v_exp_f32_e32 v6, v6                                       // 000000008BB8: 7E0C4106
	v_exp_f32_e32 v7, v7                                       // 000000008BBC: 7E0E4107
	v_add_f32_e64 v4, v4, 1.0                                  // 000000008BC0: D1010004 0001E504
	v_add_f32_e64 v5, v5, 1.0                                  // 000000008BC8: D1010005 0001E505
	v_add_f32_e64 v6, v6, 1.0                                  // 000000008BD0: D1010006 0001E506
	v_add_f32_e64 v7, v7, 1.0                                  // 000000008BD8: D1010007 0001E507
	v_rcp_f32_e32 v4, v4                                       // 000000008BE0: 7E084504
	v_rcp_f32_e32 v5, v5                                       // 000000008BE4: 7E0A4505
	v_rcp_f32_e32 v6, v6                                       // 000000008BE8: 7E0C4506
	v_rcp_f32_e32 v7, v7                                       // 000000008BEC: 7E0E4507
	v_mul_f32_e32 v116, v116, v4                               // 000000008BF0: 0AE80974
	v_mul_f32_e32 v117, v117, v5                               // 000000008BF4: 0AEA0B75
	v_mul_f32_e32 v118, v118, v6                               // 000000008BF8: 0AEC0D76
	v_mul_f32_e32 v119, v119, v7                               // 000000008BFC: 0AEE0F77
	v_mul_f32_e32 v116, v116, v196                             // 000000008C00: 0AE98974
	v_mul_f32_e32 v117, v117, v197                             // 000000008C04: 0AEB8B75
	v_mul_f32_e32 v118, v118, v198                             // 000000008C08: 0AED8D76
	v_mul_f32_e32 v119, v119, v199                             // 000000008C0C: 0AEF8F77
	v_pk_mul_f32 v[4:5], v[120:121], v[120:121]                // 000000008C10: D3B14004 1802F178
	v_pk_mul_f32 v[6:7], v[122:123], v[122:123]                // 000000008C18: D3B14006 1802F57A
	v_pk_fma_f32 v[4:5], v[4:5], s[78:79], v[8:9]              // 000000008C20: D3B04004 1C209D04
	v_pk_fma_f32 v[6:7], v[6:7], s[78:79], v[8:9]              // 000000008C28: D3B04006 1C209D06
	v_pk_mul_f32 v[4:5], v[4:5], v[120:121]                    // 000000008C30: D3B14004 1802F104
	v_pk_mul_f32 v[6:7], v[6:7], v[122:123]                    // 000000008C38: D3B14006 1802F506
	v_pk_mul_f32 v[4:5], v[4:5], s[60:61]                      // 000000008C40: D3B14004 18007904
	v_pk_mul_f32 v[6:7], v[6:7], s[60:61]                      // 000000008C48: D3B14006 18007906
	v_exp_f32_e32 v4, v4                                       // 000000008C50: 7E084104
	v_exp_f32_e32 v5, v5                                       // 000000008C54: 7E0A4105
	v_exp_f32_e32 v6, v6                                       // 000000008C58: 7E0C4106
	v_exp_f32_e32 v7, v7                                       // 000000008C5C: 7E0E4107
	v_add_f32_e64 v4, v4, 1.0                                  // 000000008C60: D1010004 0001E504
	v_add_f32_e64 v5, v5, 1.0                                  // 000000008C68: D1010005 0001E505
	v_add_f32_e64 v6, v6, 1.0                                  // 000000008C70: D1010006 0001E506
	v_add_f32_e64 v7, v7, 1.0                                  // 000000008C78: D1010007 0001E507
	v_rcp_f32_e32 v4, v4                                       // 000000008C80: 7E084504
	v_rcp_f32_e32 v5, v5                                       // 000000008C84: 7E0A4505
	v_rcp_f32_e32 v6, v6                                       // 000000008C88: 7E0C4506
	v_rcp_f32_e32 v7, v7                                       // 000000008C8C: 7E0E4507
	v_mul_f32_e32 v120, v120, v4                               // 000000008C90: 0AF00978
	v_mul_f32_e32 v121, v121, v5                               // 000000008C94: 0AF20B79
	v_mul_f32_e32 v122, v122, v6                               // 000000008C98: 0AF40D7A
	v_mul_f32_e32 v123, v123, v7                               // 000000008C9C: 0AF60F7B
	v_mul_f32_e32 v120, v120, v200                             // 000000008CA0: 0AF19178
	v_mul_f32_e32 v121, v121, v201                             // 000000008CA4: 0AF39379
	v_mul_f32_e32 v122, v122, v202                             // 000000008CA8: 0AF5957A
	v_mul_f32_e32 v123, v123, v203                             // 000000008CAC: 0AF7977B
	v_pk_mul_f32 v[4:5], v[124:125], v[124:125]                // 000000008CB0: D3B14004 1802F97C
	v_pk_mul_f32 v[6:7], v[126:127], v[126:127]                // 000000008CB8: D3B14006 1802FD7E
	v_pk_fma_f32 v[4:5], v[4:5], s[78:79], v[8:9]              // 000000008CC0: D3B04004 1C209D04
	v_pk_fma_f32 v[6:7], v[6:7], s[78:79], v[8:9]              // 000000008CC8: D3B04006 1C209D06
	v_pk_mul_f32 v[4:5], v[4:5], v[124:125]                    // 000000008CD0: D3B14004 1802F904
	v_pk_mul_f32 v[6:7], v[6:7], v[126:127]                    // 000000008CD8: D3B14006 1802FD06
	v_pk_mul_f32 v[4:5], v[4:5], s[60:61]                      // 000000008CE0: D3B14004 18007904
	v_pk_mul_f32 v[6:7], v[6:7], s[60:61]                      // 000000008CE8: D3B14006 18007906
	v_exp_f32_e32 v4, v4                                       // 000000008CF0: 7E084104
	v_exp_f32_e32 v5, v5                                       // 000000008CF4: 7E0A4105
	v_exp_f32_e32 v6, v6                                       // 000000008CF8: 7E0C4106
	v_exp_f32_e32 v7, v7                                       // 000000008CFC: 7E0E4107
	v_add_f32_e64 v4, v4, 1.0                                  // 000000008D00: D1010004 0001E504
	v_add_f32_e64 v5, v5, 1.0                                  // 000000008D08: D1010005 0001E505
	v_add_f32_e64 v6, v6, 1.0                                  // 000000008D10: D1010006 0001E506
	v_add_f32_e64 v7, v7, 1.0                                  // 000000008D18: D1010007 0001E507
	v_rcp_f32_e32 v4, v4                                       // 000000008D20: 7E084504
	v_rcp_f32_e32 v5, v5                                       // 000000008D24: 7E0A4505
	v_rcp_f32_e32 v6, v6                                       // 000000008D28: 7E0C4506
	v_rcp_f32_e32 v7, v7                                       // 000000008D2C: 7E0E4507
	v_mul_f32_e32 v124, v124, v4                               // 000000008D30: 0AF8097C
	v_mul_f32_e32 v125, v125, v5                               // 000000008D34: 0AFA0B7D
	v_mul_f32_e32 v126, v126, v6                               // 000000008D38: 0AFC0D7E
	v_mul_f32_e32 v127, v127, v7                               // 000000008D3C: 0AFE0F7F
	v_mul_f32_e32 v124, v124, v204                             // 000000008D40: 0AF9997C
	v_mul_f32_e32 v125, v125, v205                             // 000000008D44: 0AFB9B7D
	v_mul_f32_e32 v126, v126, v206                             // 000000008D48: 0AFD9D7E
	v_mul_f32_e32 v127, v127, v207                             // 000000008D4C: 0AFF9F7F
	v_pk_mul_f32 v[4:5], v[128:129], v[128:129]                // 000000008D50: D3B14004 18030180
	v_pk_mul_f32 v[6:7], v[130:131], v[130:131]                // 000000008D58: D3B14006 18030582
	v_pk_fma_f32 v[4:5], v[4:5], s[78:79], v[8:9]              // 000000008D60: D3B04004 1C209D04
	v_pk_fma_f32 v[6:7], v[6:7], s[78:79], v[8:9]              // 000000008D68: D3B04006 1C209D06
	v_pk_mul_f32 v[4:5], v[4:5], v[128:129]                    // 000000008D70: D3B14004 18030104
	v_pk_mul_f32 v[6:7], v[6:7], v[130:131]                    // 000000008D78: D3B14006 18030506
	v_pk_mul_f32 v[4:5], v[4:5], s[60:61]                      // 000000008D80: D3B14004 18007904
	v_pk_mul_f32 v[6:7], v[6:7], s[60:61]                      // 000000008D88: D3B14006 18007906
	v_exp_f32_e32 v4, v4                                       // 000000008D90: 7E084104
	v_exp_f32_e32 v5, v5                                       // 000000008D94: 7E0A4105
	v_exp_f32_e32 v6, v6                                       // 000000008D98: 7E0C4106
	v_exp_f32_e32 v7, v7                                       // 000000008D9C: 7E0E4107
	v_add_f32_e64 v4, v4, 1.0                                  // 000000008DA0: D1010004 0001E504
	v_add_f32_e64 v5, v5, 1.0                                  // 000000008DA8: D1010005 0001E505
	v_add_f32_e64 v6, v6, 1.0                                  // 000000008DB0: D1010006 0001E506
	v_add_f32_e64 v7, v7, 1.0                                  // 000000008DB8: D1010007 0001E507
	v_rcp_f32_e32 v4, v4                                       // 000000008DC0: 7E084504
	v_rcp_f32_e32 v5, v5                                       // 000000008DC4: 7E0A4505
	v_rcp_f32_e32 v6, v6                                       // 000000008DC8: 7E0C4506
	v_rcp_f32_e32 v7, v7                                       // 000000008DCC: 7E0E4507
	v_mul_f32_e32 v128, v128, v4                               // 000000008DD0: 0B000980
	v_mul_f32_e32 v129, v129, v5                               // 000000008DD4: 0B020B81
	v_mul_f32_e32 v130, v130, v6                               // 000000008DD8: 0B040D82
	v_mul_f32_e32 v131, v131, v7                               // 000000008DDC: 0B060F83
	v_mul_f32_e32 v128, v128, v208                             // 000000008DE0: 0B01A180
	v_mul_f32_e32 v129, v129, v209                             // 000000008DE4: 0B03A381
	v_mul_f32_e32 v130, v130, v210                             // 000000008DE8: 0B05A582
	v_mul_f32_e32 v131, v131, v211                             // 000000008DEC: 0B07A783
	v_pk_mul_f32 v[4:5], v[132:133], v[132:133]                // 000000008DF0: D3B14004 18030984
	v_pk_mul_f32 v[6:7], v[134:135], v[134:135]                // 000000008DF8: D3B14006 18030D86
	v_pk_fma_f32 v[4:5], v[4:5], s[78:79], v[8:9]              // 000000008E00: D3B04004 1C209D04
	v_pk_fma_f32 v[6:7], v[6:7], s[78:79], v[8:9]              // 000000008E08: D3B04006 1C209D06
	v_pk_mul_f32 v[4:5], v[4:5], v[132:133]                    // 000000008E10: D3B14004 18030904
	v_pk_mul_f32 v[6:7], v[6:7], v[134:135]                    // 000000008E18: D3B14006 18030D06
	v_pk_mul_f32 v[4:5], v[4:5], s[60:61]                      // 000000008E20: D3B14004 18007904
	v_pk_mul_f32 v[6:7], v[6:7], s[60:61]                      // 000000008E28: D3B14006 18007906
	v_exp_f32_e32 v4, v4                                       // 000000008E30: 7E084104
	v_exp_f32_e32 v5, v5                                       // 000000008E34: 7E0A4105
	v_exp_f32_e32 v6, v6                                       // 000000008E38: 7E0C4106
	v_exp_f32_e32 v7, v7                                       // 000000008E3C: 7E0E4107
	v_add_f32_e64 v4, v4, 1.0                                  // 000000008E40: D1010004 0001E504
	v_add_f32_e64 v5, v5, 1.0                                  // 000000008E48: D1010005 0001E505
	v_add_f32_e64 v6, v6, 1.0                                  // 000000008E50: D1010006 0001E506
	v_add_f32_e64 v7, v7, 1.0                                  // 000000008E58: D1010007 0001E507
	v_rcp_f32_e32 v4, v4                                       // 000000008E60: 7E084504
	v_rcp_f32_e32 v5, v5                                       // 000000008E64: 7E0A4505
	v_rcp_f32_e32 v6, v6                                       // 000000008E68: 7E0C4506
	v_rcp_f32_e32 v7, v7                                       // 000000008E6C: 7E0E4507
	v_mul_f32_e32 v132, v132, v4                               // 000000008E70: 0B080984
	v_mul_f32_e32 v133, v133, v5                               // 000000008E74: 0B0A0B85
	v_mul_f32_e32 v134, v134, v6                               // 000000008E78: 0B0C0D86
	v_mul_f32_e32 v135, v135, v7                               // 000000008E7C: 0B0E0F87
	v_mul_f32_e32 v132, v132, v212                             // 000000008E80: 0B09A984
	v_mul_f32_e32 v133, v133, v213                             // 000000008E84: 0B0BAB85
	v_mul_f32_e32 v134, v134, v214                             // 000000008E88: 0B0DAD86
	v_mul_f32_e32 v135, v135, v215                             // 000000008E8C: 0B0FAF87
	v_pk_mul_f32 v[4:5], v[136:137], v[136:137]                // 000000008E90: D3B14004 18031188
	v_pk_mul_f32 v[6:7], v[138:139], v[138:139]                // 000000008E98: D3B14006 1803158A
	v_pk_fma_f32 v[4:5], v[4:5], s[78:79], v[8:9]              // 000000008EA0: D3B04004 1C209D04
	v_pk_fma_f32 v[6:7], v[6:7], s[78:79], v[8:9]              // 000000008EA8: D3B04006 1C209D06
	v_pk_mul_f32 v[4:5], v[4:5], v[136:137]                    // 000000008EB0: D3B14004 18031104
	v_pk_mul_f32 v[6:7], v[6:7], v[138:139]                    // 000000008EB8: D3B14006 18031506
	v_pk_mul_f32 v[4:5], v[4:5], s[60:61]                      // 000000008EC0: D3B14004 18007904
	v_pk_mul_f32 v[6:7], v[6:7], s[60:61]                      // 000000008EC8: D3B14006 18007906
	v_exp_f32_e32 v4, v4                                       // 000000008ED0: 7E084104
	v_exp_f32_e32 v5, v5                                       // 000000008ED4: 7E0A4105
	v_exp_f32_e32 v6, v6                                       // 000000008ED8: 7E0C4106
	v_exp_f32_e32 v7, v7                                       // 000000008EDC: 7E0E4107
	v_add_f32_e64 v4, v4, 1.0                                  // 000000008EE0: D1010004 0001E504
	v_add_f32_e64 v5, v5, 1.0                                  // 000000008EE8: D1010005 0001E505
	v_add_f32_e64 v6, v6, 1.0                                  // 000000008EF0: D1010006 0001E506
	v_add_f32_e64 v7, v7, 1.0                                  // 000000008EF8: D1010007 0001E507
	v_rcp_f32_e32 v4, v4                                       // 000000008F00: 7E084504
	v_rcp_f32_e32 v5, v5                                       // 000000008F04: 7E0A4505
	v_rcp_f32_e32 v6, v6                                       // 000000008F08: 7E0C4506
	v_rcp_f32_e32 v7, v7                                       // 000000008F0C: 7E0E4507
	v_mul_f32_e32 v136, v136, v4                               // 000000008F10: 0B100988
	v_mul_f32_e32 v137, v137, v5                               // 000000008F14: 0B120B89
	v_mul_f32_e32 v138, v138, v6                               // 000000008F18: 0B140D8A
	v_mul_f32_e32 v139, v139, v7                               // 000000008F1C: 0B160F8B
	v_mul_f32_e32 v136, v136, v216                             // 000000008F20: 0B11B188
	v_mul_f32_e32 v137, v137, v217                             // 000000008F24: 0B13B389
	v_mul_f32_e32 v138, v138, v218                             // 000000008F28: 0B15B58A
	v_mul_f32_e32 v139, v139, v219                             // 000000008F2C: 0B17B78B
	v_pk_mul_f32 v[4:5], v[140:141], v[140:141]                // 000000008F30: D3B14004 1803198C
	v_pk_mul_f32 v[6:7], v[142:143], v[142:143]                // 000000008F38: D3B14006 18031D8E
	v_pk_fma_f32 v[4:5], v[4:5], s[78:79], v[8:9]              // 000000008F40: D3B04004 1C209D04
	v_pk_fma_f32 v[6:7], v[6:7], s[78:79], v[8:9]              // 000000008F48: D3B04006 1C209D06
	v_pk_mul_f32 v[4:5], v[4:5], v[140:141]                    // 000000008F50: D3B14004 18031904
	v_pk_mul_f32 v[6:7], v[6:7], v[142:143]                    // 000000008F58: D3B14006 18031D06
	v_pk_mul_f32 v[4:5], v[4:5], s[60:61]                      // 000000008F60: D3B14004 18007904
	v_pk_mul_f32 v[6:7], v[6:7], s[60:61]                      // 000000008F68: D3B14006 18007906
	v_exp_f32_e32 v4, v4                                       // 000000008F70: 7E084104
	v_exp_f32_e32 v5, v5                                       // 000000008F74: 7E0A4105
	v_exp_f32_e32 v6, v6                                       // 000000008F78: 7E0C4106
	v_exp_f32_e32 v7, v7                                       // 000000008F7C: 7E0E4107
	v_add_f32_e64 v4, v4, 1.0                                  // 000000008F80: D1010004 0001E504
	v_add_f32_e64 v5, v5, 1.0                                  // 000000008F88: D1010005 0001E505
	v_add_f32_e64 v6, v6, 1.0                                  // 000000008F90: D1010006 0001E506
	v_add_f32_e64 v7, v7, 1.0                                  // 000000008F98: D1010007 0001E507
	v_rcp_f32_e32 v4, v4                                       // 000000008FA0: 7E084504
	v_rcp_f32_e32 v5, v5                                       // 000000008FA4: 7E0A4505
	v_rcp_f32_e32 v6, v6                                       // 000000008FA8: 7E0C4506
	v_rcp_f32_e32 v7, v7                                       // 000000008FAC: 7E0E4507
	v_mul_f32_e32 v140, v140, v4                               // 000000008FB0: 0B18098C
	v_mul_f32_e32 v141, v141, v5                               // 000000008FB4: 0B1A0B8D
	v_mul_f32_e32 v142, v142, v6                               // 000000008FB8: 0B1C0D8E
	v_mul_f32_e32 v143, v143, v7                               // 000000008FBC: 0B1E0F8F
	v_mul_f32_e32 v140, v140, v220                             // 000000008FC0: 0B19B98C
	v_mul_f32_e32 v141, v141, v221                             // 000000008FC4: 0B1BBB8D
	v_mul_f32_e32 v142, v142, v222                             // 000000008FC8: 0B1DBD8E
	v_mul_f32_e32 v143, v143, v223                             // 000000008FCC: 0B1FBF8F
	s_branch label_1BF5                                        // 000000008FD0: BF820280

0000000000008fd4 <label_1975>:
	v_mul_f32_e64 v4, -v64, s6                                 // 000000008FD4: D1050004 20000D40
	v_mul_f32_e64 v5, -v65, s6                                 // 000000008FDC: D1050005 20000D41
	v_mul_f32_e64 v6, -v66, s6                                 // 000000008FE4: D1050006 20000D42
	v_mul_f32_e64 v7, -v67, s6                                 // 000000008FEC: D1050007 20000D43
	v_exp_f32_e32 v4, v4                                       // 000000008FF4: 7E084104
	v_exp_f32_e32 v5, v5                                       // 000000008FF8: 7E0A4105
	v_exp_f32_e32 v6, v6                                       // 000000008FFC: 7E0C4106
	v_exp_f32_e32 v7, v7                                       // 000000009000: 7E0E4107
	v_add_f32_e64 v4, v4, 1.0                                  // 000000009004: D1010004 0001E504
	v_add_f32_e64 v5, v5, 1.0                                  // 00000000900C: D1010005 0001E505
	v_add_f32_e64 v6, v6, 1.0                                  // 000000009014: D1010006 0001E506
	v_add_f32_e64 v7, v7, 1.0                                  // 00000000901C: D1010007 0001E507
	v_rcp_f32_e32 v4, v4                                       // 000000009024: 7E084504
	v_rcp_f32_e32 v5, v5                                       // 000000009028: 7E0A4505
	v_rcp_f32_e32 v6, v6                                       // 00000000902C: 7E0C4506
	v_rcp_f32_e32 v7, v7                                       // 000000009030: 7E0E4507
	v_mul_f32_e32 v64, v64, v4                                 // 000000009034: 0A800940
	v_mul_f32_e32 v65, v65, v5                                 // 000000009038: 0A820B41
	v_mul_f32_e32 v66, v66, v6                                 // 00000000903C: 0A840D42
	v_mul_f32_e32 v67, v67, v7                                 // 000000009040: 0A860F43
	v_mul_f32_e32 v64, v64, v144                               // 000000009044: 0A812140
	v_mul_f32_e32 v65, v65, v145                               // 000000009048: 0A832341
	v_mul_f32_e32 v66, v66, v146                               // 00000000904C: 0A852542
	v_mul_f32_e32 v67, v67, v147                               // 000000009050: 0A872743
	v_mul_f32_e64 v4, -v68, s6                                 // 000000009054: D1050004 20000D44
	v_mul_f32_e64 v5, -v69, s6                                 // 00000000905C: D1050005 20000D45
	v_mul_f32_e64 v6, -v70, s6                                 // 000000009064: D1050006 20000D46
	v_mul_f32_e64 v7, -v71, s6                                 // 00000000906C: D1050007 20000D47
	v_exp_f32_e32 v4, v4                                       // 000000009074: 7E084104
	v_exp_f32_e32 v5, v5                                       // 000000009078: 7E0A4105
	v_exp_f32_e32 v6, v6                                       // 00000000907C: 7E0C4106
	v_exp_f32_e32 v7, v7                                       // 000000009080: 7E0E4107
	v_add_f32_e64 v4, v4, 1.0                                  // 000000009084: D1010004 0001E504
	v_add_f32_e64 v5, v5, 1.0                                  // 00000000908C: D1010005 0001E505
	v_add_f32_e64 v6, v6, 1.0                                  // 000000009094: D1010006 0001E506
	v_add_f32_e64 v7, v7, 1.0                                  // 00000000909C: D1010007 0001E507
	v_rcp_f32_e32 v4, v4                                       // 0000000090A4: 7E084504
	v_rcp_f32_e32 v5, v5                                       // 0000000090A8: 7E0A4505
	v_rcp_f32_e32 v6, v6                                       // 0000000090AC: 7E0C4506
	v_rcp_f32_e32 v7, v7                                       // 0000000090B0: 7E0E4507
	v_mul_f32_e32 v68, v68, v4                                 // 0000000090B4: 0A880944
	v_mul_f32_e32 v69, v69, v5                                 // 0000000090B8: 0A8A0B45
	v_mul_f32_e32 v70, v70, v6                                 // 0000000090BC: 0A8C0D46
	v_mul_f32_e32 v71, v71, v7                                 // 0000000090C0: 0A8E0F47
	v_mul_f32_e32 v68, v68, v148                               // 0000000090C4: 0A892944
	v_mul_f32_e32 v69, v69, v149                               // 0000000090C8: 0A8B2B45
	v_mul_f32_e32 v70, v70, v150                               // 0000000090CC: 0A8D2D46
	v_mul_f32_e32 v71, v71, v151                               // 0000000090D0: 0A8F2F47
	v_mul_f32_e64 v4, -v72, s6                                 // 0000000090D4: D1050004 20000D48
	v_mul_f32_e64 v5, -v73, s6                                 // 0000000090DC: D1050005 20000D49
	v_mul_f32_e64 v6, -v74, s6                                 // 0000000090E4: D1050006 20000D4A
	v_mul_f32_e64 v7, -v75, s6                                 // 0000000090EC: D1050007 20000D4B
	v_exp_f32_e32 v4, v4                                       // 0000000090F4: 7E084104
	v_exp_f32_e32 v5, v5                                       // 0000000090F8: 7E0A4105
	v_exp_f32_e32 v6, v6                                       // 0000000090FC: 7E0C4106
	v_exp_f32_e32 v7, v7                                       // 000000009100: 7E0E4107
	v_add_f32_e64 v4, v4, 1.0                                  // 000000009104: D1010004 0001E504
	v_add_f32_e64 v5, v5, 1.0                                  // 00000000910C: D1010005 0001E505
	v_add_f32_e64 v6, v6, 1.0                                  // 000000009114: D1010006 0001E506
	v_add_f32_e64 v7, v7, 1.0                                  // 00000000911C: D1010007 0001E507
	v_rcp_f32_e32 v4, v4                                       // 000000009124: 7E084504
	v_rcp_f32_e32 v5, v5                                       // 000000009128: 7E0A4505
	v_rcp_f32_e32 v6, v6                                       // 00000000912C: 7E0C4506
	v_rcp_f32_e32 v7, v7                                       // 000000009130: 7E0E4507
	v_mul_f32_e32 v72, v72, v4                                 // 000000009134: 0A900948
	v_mul_f32_e32 v73, v73, v5                                 // 000000009138: 0A920B49
	v_mul_f32_e32 v74, v74, v6                                 // 00000000913C: 0A940D4A
	v_mul_f32_e32 v75, v75, v7                                 // 000000009140: 0A960F4B
	v_mul_f32_e32 v72, v72, v152                               // 000000009144: 0A913148
	v_mul_f32_e32 v73, v73, v153                               // 000000009148: 0A933349
	v_mul_f32_e32 v74, v74, v154                               // 00000000914C: 0A95354A
	v_mul_f32_e32 v75, v75, v155                               // 000000009150: 0A97374B
	v_mul_f32_e64 v4, -v76, s6                                 // 000000009154: D1050004 20000D4C
	v_mul_f32_e64 v5, -v77, s6                                 // 00000000915C: D1050005 20000D4D
	v_mul_f32_e64 v6, -v78, s6                                 // 000000009164: D1050006 20000D4E
	v_mul_f32_e64 v7, -v79, s6                                 // 00000000916C: D1050007 20000D4F
	v_exp_f32_e32 v4, v4                                       // 000000009174: 7E084104
	v_exp_f32_e32 v5, v5                                       // 000000009178: 7E0A4105
	v_exp_f32_e32 v6, v6                                       // 00000000917C: 7E0C4106
	v_exp_f32_e32 v7, v7                                       // 000000009180: 7E0E4107
	v_add_f32_e64 v4, v4, 1.0                                  // 000000009184: D1010004 0001E504
	v_add_f32_e64 v5, v5, 1.0                                  // 00000000918C: D1010005 0001E505
	v_add_f32_e64 v6, v6, 1.0                                  // 000000009194: D1010006 0001E506
	v_add_f32_e64 v7, v7, 1.0                                  // 00000000919C: D1010007 0001E507
	v_rcp_f32_e32 v4, v4                                       // 0000000091A4: 7E084504
	v_rcp_f32_e32 v5, v5                                       // 0000000091A8: 7E0A4505
	v_rcp_f32_e32 v6, v6                                       // 0000000091AC: 7E0C4506
	v_rcp_f32_e32 v7, v7                                       // 0000000091B0: 7E0E4507
	v_mul_f32_e32 v76, v76, v4                                 // 0000000091B4: 0A98094C
	v_mul_f32_e32 v77, v77, v5                                 // 0000000091B8: 0A9A0B4D
	v_mul_f32_e32 v78, v78, v6                                 // 0000000091BC: 0A9C0D4E
	v_mul_f32_e32 v79, v79, v7                                 // 0000000091C0: 0A9E0F4F
	v_mul_f32_e32 v76, v76, v156                               // 0000000091C4: 0A99394C
	v_mul_f32_e32 v77, v77, v157                               // 0000000091C8: 0A9B3B4D
	v_mul_f32_e32 v78, v78, v158                               // 0000000091CC: 0A9D3D4E
	v_mul_f32_e32 v79, v79, v159                               // 0000000091D0: 0A9F3F4F
	v_mul_f32_e64 v4, -v80, s6                                 // 0000000091D4: D1050004 20000D50
	v_mul_f32_e64 v5, -v81, s6                                 // 0000000091DC: D1050005 20000D51
	v_mul_f32_e64 v6, -v82, s6                                 // 0000000091E4: D1050006 20000D52
	v_mul_f32_e64 v7, -v83, s6                                 // 0000000091EC: D1050007 20000D53
	v_exp_f32_e32 v4, v4                                       // 0000000091F4: 7E084104
	v_exp_f32_e32 v5, v5                                       // 0000000091F8: 7E0A4105
	v_exp_f32_e32 v6, v6                                       // 0000000091FC: 7E0C4106
	v_exp_f32_e32 v7, v7                                       // 000000009200: 7E0E4107
	v_add_f32_e64 v4, v4, 1.0                                  // 000000009204: D1010004 0001E504
	v_add_f32_e64 v5, v5, 1.0                                  // 00000000920C: D1010005 0001E505
	v_add_f32_e64 v6, v6, 1.0                                  // 000000009214: D1010006 0001E506
	v_add_f32_e64 v7, v7, 1.0                                  // 00000000921C: D1010007 0001E507
	v_rcp_f32_e32 v4, v4                                       // 000000009224: 7E084504
	v_rcp_f32_e32 v5, v5                                       // 000000009228: 7E0A4505
	v_rcp_f32_e32 v6, v6                                       // 00000000922C: 7E0C4506
	v_rcp_f32_e32 v7, v7                                       // 000000009230: 7E0E4507
	v_mul_f32_e32 v80, v80, v4                                 // 000000009234: 0AA00950
	v_mul_f32_e32 v81, v81, v5                                 // 000000009238: 0AA20B51
	v_mul_f32_e32 v82, v82, v6                                 // 00000000923C: 0AA40D52
	v_mul_f32_e32 v83, v83, v7                                 // 000000009240: 0AA60F53
	v_mul_f32_e32 v80, v80, v160                               // 000000009244: 0AA14150
	v_mul_f32_e32 v81, v81, v161                               // 000000009248: 0AA34351
	v_mul_f32_e32 v82, v82, v162                               // 00000000924C: 0AA54552
	v_mul_f32_e32 v83, v83, v163                               // 000000009250: 0AA74753
	v_mul_f32_e64 v4, -v84, s6                                 // 000000009254: D1050004 20000D54
	v_mul_f32_e64 v5, -v85, s6                                 // 00000000925C: D1050005 20000D55
	v_mul_f32_e64 v6, -v86, s6                                 // 000000009264: D1050006 20000D56
	v_mul_f32_e64 v7, -v87, s6                                 // 00000000926C: D1050007 20000D57
	v_exp_f32_e32 v4, v4                                       // 000000009274: 7E084104
	v_exp_f32_e32 v5, v5                                       // 000000009278: 7E0A4105
	v_exp_f32_e32 v6, v6                                       // 00000000927C: 7E0C4106
	v_exp_f32_e32 v7, v7                                       // 000000009280: 7E0E4107
	v_add_f32_e64 v4, v4, 1.0                                  // 000000009284: D1010004 0001E504
	v_add_f32_e64 v5, v5, 1.0                                  // 00000000928C: D1010005 0001E505
	v_add_f32_e64 v6, v6, 1.0                                  // 000000009294: D1010006 0001E506
	v_add_f32_e64 v7, v7, 1.0                                  // 00000000929C: D1010007 0001E507
	v_rcp_f32_e32 v4, v4                                       // 0000000092A4: 7E084504
	v_rcp_f32_e32 v5, v5                                       // 0000000092A8: 7E0A4505
	v_rcp_f32_e32 v6, v6                                       // 0000000092AC: 7E0C4506
	v_rcp_f32_e32 v7, v7                                       // 0000000092B0: 7E0E4507
	v_mul_f32_e32 v84, v84, v4                                 // 0000000092B4: 0AA80954
	v_mul_f32_e32 v85, v85, v5                                 // 0000000092B8: 0AAA0B55
	v_mul_f32_e32 v86, v86, v6                                 // 0000000092BC: 0AAC0D56
	v_mul_f32_e32 v87, v87, v7                                 // 0000000092C0: 0AAE0F57
	v_mul_f32_e32 v84, v84, v164                               // 0000000092C4: 0AA94954
	v_mul_f32_e32 v85, v85, v165                               // 0000000092C8: 0AAB4B55
	v_mul_f32_e32 v86, v86, v166                               // 0000000092CC: 0AAD4D56
	v_mul_f32_e32 v87, v87, v167                               // 0000000092D0: 0AAF4F57
	v_mul_f32_e64 v4, -v88, s6                                 // 0000000092D4: D1050004 20000D58
	v_mul_f32_e64 v5, -v89, s6                                 // 0000000092DC: D1050005 20000D59
	v_mul_f32_e64 v6, -v90, s6                                 // 0000000092E4: D1050006 20000D5A
	v_mul_f32_e64 v7, -v91, s6                                 // 0000000092EC: D1050007 20000D5B
	v_exp_f32_e32 v4, v4                                       // 0000000092F4: 7E084104
	v_exp_f32_e32 v5, v5                                       // 0000000092F8: 7E0A4105
	v_exp_f32_e32 v6, v6                                       // 0000000092FC: 7E0C4106
	v_exp_f32_e32 v7, v7                                       // 000000009300: 7E0E4107
	v_add_f32_e64 v4, v4, 1.0                                  // 000000009304: D1010004 0001E504
	v_add_f32_e64 v5, v5, 1.0                                  // 00000000930C: D1010005 0001E505
	v_add_f32_e64 v6, v6, 1.0                                  // 000000009314: D1010006 0001E506
	v_add_f32_e64 v7, v7, 1.0                                  // 00000000931C: D1010007 0001E507
	v_rcp_f32_e32 v4, v4                                       // 000000009324: 7E084504
	v_rcp_f32_e32 v5, v5                                       // 000000009328: 7E0A4505
	v_rcp_f32_e32 v6, v6                                       // 00000000932C: 7E0C4506
	v_rcp_f32_e32 v7, v7                                       // 000000009330: 7E0E4507
	v_mul_f32_e32 v88, v88, v4                                 // 000000009334: 0AB00958
	v_mul_f32_e32 v89, v89, v5                                 // 000000009338: 0AB20B59
	v_mul_f32_e32 v90, v90, v6                                 // 00000000933C: 0AB40D5A
	v_mul_f32_e32 v91, v91, v7                                 // 000000009340: 0AB60F5B
	v_mul_f32_e32 v88, v88, v168                               // 000000009344: 0AB15158
	v_mul_f32_e32 v89, v89, v169                               // 000000009348: 0AB35359
	v_mul_f32_e32 v90, v90, v170                               // 00000000934C: 0AB5555A
	v_mul_f32_e32 v91, v91, v171                               // 000000009350: 0AB7575B
	v_mul_f32_e64 v4, -v92, s6                                 // 000000009354: D1050004 20000D5C
	v_mul_f32_e64 v5, -v93, s6                                 // 00000000935C: D1050005 20000D5D
	v_mul_f32_e64 v6, -v94, s6                                 // 000000009364: D1050006 20000D5E
	v_mul_f32_e64 v7, -v95, s6                                 // 00000000936C: D1050007 20000D5F
	v_exp_f32_e32 v4, v4                                       // 000000009374: 7E084104
	v_exp_f32_e32 v5, v5                                       // 000000009378: 7E0A4105
	v_exp_f32_e32 v6, v6                                       // 00000000937C: 7E0C4106
	v_exp_f32_e32 v7, v7                                       // 000000009380: 7E0E4107
	v_add_f32_e64 v4, v4, 1.0                                  // 000000009384: D1010004 0001E504
	v_add_f32_e64 v5, v5, 1.0                                  // 00000000938C: D1010005 0001E505
	v_add_f32_e64 v6, v6, 1.0                                  // 000000009394: D1010006 0001E506
	v_add_f32_e64 v7, v7, 1.0                                  // 00000000939C: D1010007 0001E507
	v_rcp_f32_e32 v4, v4                                       // 0000000093A4: 7E084504
	v_rcp_f32_e32 v5, v5                                       // 0000000093A8: 7E0A4505
	v_rcp_f32_e32 v6, v6                                       // 0000000093AC: 7E0C4506
	v_rcp_f32_e32 v7, v7                                       // 0000000093B0: 7E0E4507
	v_mul_f32_e32 v92, v92, v4                                 // 0000000093B4: 0AB8095C
	v_mul_f32_e32 v93, v93, v5                                 // 0000000093B8: 0ABA0B5D
	v_mul_f32_e32 v94, v94, v6                                 // 0000000093BC: 0ABC0D5E
	v_mul_f32_e32 v95, v95, v7                                 // 0000000093C0: 0ABE0F5F
	v_mul_f32_e32 v92, v92, v172                               // 0000000093C4: 0AB9595C
	v_mul_f32_e32 v93, v93, v173                               // 0000000093C8: 0ABB5B5D
	v_mul_f32_e32 v94, v94, v174                               // 0000000093CC: 0ABD5D5E
	v_mul_f32_e32 v95, v95, v175                               // 0000000093D0: 0ABF5F5F
	v_mul_f32_e64 v4, -v96, s6                                 // 0000000093D4: D1050004 20000D60
	v_mul_f32_e64 v5, -v97, s6                                 // 0000000093DC: D1050005 20000D61
	v_mul_f32_e64 v6, -v98, s6                                 // 0000000093E4: D1050006 20000D62
	v_mul_f32_e64 v7, -v99, s6                                 // 0000000093EC: D1050007 20000D63
	v_exp_f32_e32 v4, v4                                       // 0000000093F4: 7E084104
	v_exp_f32_e32 v5, v5                                       // 0000000093F8: 7E0A4105
	v_exp_f32_e32 v6, v6                                       // 0000000093FC: 7E0C4106
	v_exp_f32_e32 v7, v7                                       // 000000009400: 7E0E4107
	v_add_f32_e64 v4, v4, 1.0                                  // 000000009404: D1010004 0001E504
	v_add_f32_e64 v5, v5, 1.0                                  // 00000000940C: D1010005 0001E505
	v_add_f32_e64 v6, v6, 1.0                                  // 000000009414: D1010006 0001E506
	v_add_f32_e64 v7, v7, 1.0                                  // 00000000941C: D1010007 0001E507
	v_rcp_f32_e32 v4, v4                                       // 000000009424: 7E084504
	v_rcp_f32_e32 v5, v5                                       // 000000009428: 7E0A4505
	v_rcp_f32_e32 v6, v6                                       // 00000000942C: 7E0C4506
	v_rcp_f32_e32 v7, v7                                       // 000000009430: 7E0E4507
	v_mul_f32_e32 v96, v96, v4                                 // 000000009434: 0AC00960
	v_mul_f32_e32 v97, v97, v5                                 // 000000009438: 0AC20B61
	v_mul_f32_e32 v98, v98, v6                                 // 00000000943C: 0AC40D62
	v_mul_f32_e32 v99, v99, v7                                 // 000000009440: 0AC60F63
	v_mul_f32_e32 v96, v96, v176                               // 000000009444: 0AC16160
	v_mul_f32_e32 v97, v97, v177                               // 000000009448: 0AC36361
	v_mul_f32_e32 v98, v98, v178                               // 00000000944C: 0AC56562
	v_mul_f32_e32 v99, v99, v179                               // 000000009450: 0AC76763
	v_mul_f32_e64 v4, -v100, s6                                // 000000009454: D1050004 20000D64
	v_mul_f32_e64 v5, -v101, s6                                // 00000000945C: D1050005 20000D65
	v_mul_f32_e64 v6, -v102, s6                                // 000000009464: D1050006 20000D66
	v_mul_f32_e64 v7, -v103, s6                                // 00000000946C: D1050007 20000D67
	v_exp_f32_e32 v4, v4                                       // 000000009474: 7E084104
	v_exp_f32_e32 v5, v5                                       // 000000009478: 7E0A4105
	v_exp_f32_e32 v6, v6                                       // 00000000947C: 7E0C4106
	v_exp_f32_e32 v7, v7                                       // 000000009480: 7E0E4107
	v_add_f32_e64 v4, v4, 1.0                                  // 000000009484: D1010004 0001E504
	v_add_f32_e64 v5, v5, 1.0                                  // 00000000948C: D1010005 0001E505
	v_add_f32_e64 v6, v6, 1.0                                  // 000000009494: D1010006 0001E506
	v_add_f32_e64 v7, v7, 1.0                                  // 00000000949C: D1010007 0001E507
	v_rcp_f32_e32 v4, v4                                       // 0000000094A4: 7E084504
	v_rcp_f32_e32 v5, v5                                       // 0000000094A8: 7E0A4505
	v_rcp_f32_e32 v6, v6                                       // 0000000094AC: 7E0C4506
	v_rcp_f32_e32 v7, v7                                       // 0000000094B0: 7E0E4507
	v_mul_f32_e32 v100, v100, v4                               // 0000000094B4: 0AC80964
	v_mul_f32_e32 v101, v101, v5                               // 0000000094B8: 0ACA0B65
	v_mul_f32_e32 v102, v102, v6                               // 0000000094BC: 0ACC0D66
	v_mul_f32_e32 v103, v103, v7                               // 0000000094C0: 0ACE0F67
	v_mul_f32_e32 v100, v100, v180                             // 0000000094C4: 0AC96964
	v_mul_f32_e32 v101, v101, v181                             // 0000000094C8: 0ACB6B65
	v_mul_f32_e32 v102, v102, v182                             // 0000000094CC: 0ACD6D66
	v_mul_f32_e32 v103, v103, v183                             // 0000000094D0: 0ACF6F67
	v_mul_f32_e64 v4, -v104, s6                                // 0000000094D4: D1050004 20000D68
	v_mul_f32_e64 v5, -v105, s6                                // 0000000094DC: D1050005 20000D69
	v_mul_f32_e64 v6, -v106, s6                                // 0000000094E4: D1050006 20000D6A
	v_mul_f32_e64 v7, -v107, s6                                // 0000000094EC: D1050007 20000D6B
	v_exp_f32_e32 v4, v4                                       // 0000000094F4: 7E084104
	v_exp_f32_e32 v5, v5                                       // 0000000094F8: 7E0A4105
	v_exp_f32_e32 v6, v6                                       // 0000000094FC: 7E0C4106
	v_exp_f32_e32 v7, v7                                       // 000000009500: 7E0E4107
	v_add_f32_e64 v4, v4, 1.0                                  // 000000009504: D1010004 0001E504
	v_add_f32_e64 v5, v5, 1.0                                  // 00000000950C: D1010005 0001E505
	v_add_f32_e64 v6, v6, 1.0                                  // 000000009514: D1010006 0001E506
	v_add_f32_e64 v7, v7, 1.0                                  // 00000000951C: D1010007 0001E507
	v_rcp_f32_e32 v4, v4                                       // 000000009524: 7E084504
	v_rcp_f32_e32 v5, v5                                       // 000000009528: 7E0A4505
	v_rcp_f32_e32 v6, v6                                       // 00000000952C: 7E0C4506
	v_rcp_f32_e32 v7, v7                                       // 000000009530: 7E0E4507
	v_mul_f32_e32 v104, v104, v4                               // 000000009534: 0AD00968
	v_mul_f32_e32 v105, v105, v5                               // 000000009538: 0AD20B69
	v_mul_f32_e32 v106, v106, v6                               // 00000000953C: 0AD40D6A
	v_mul_f32_e32 v107, v107, v7                               // 000000009540: 0AD60F6B
	v_mul_f32_e32 v104, v104, v184                             // 000000009544: 0AD17168
	v_mul_f32_e32 v105, v105, v185                             // 000000009548: 0AD37369
	v_mul_f32_e32 v106, v106, v186                             // 00000000954C: 0AD5756A
	v_mul_f32_e32 v107, v107, v187                             // 000000009550: 0AD7776B
	v_mul_f32_e64 v4, -v108, s6                                // 000000009554: D1050004 20000D6C
	v_mul_f32_e64 v5, -v109, s6                                // 00000000955C: D1050005 20000D6D
	v_mul_f32_e64 v6, -v110, s6                                // 000000009564: D1050006 20000D6E
	v_mul_f32_e64 v7, -v111, s6                                // 00000000956C: D1050007 20000D6F
	v_exp_f32_e32 v4, v4                                       // 000000009574: 7E084104
	v_exp_f32_e32 v5, v5                                       // 000000009578: 7E0A4105
	v_exp_f32_e32 v6, v6                                       // 00000000957C: 7E0C4106
	v_exp_f32_e32 v7, v7                                       // 000000009580: 7E0E4107
	v_add_f32_e64 v4, v4, 1.0                                  // 000000009584: D1010004 0001E504
	v_add_f32_e64 v5, v5, 1.0                                  // 00000000958C: D1010005 0001E505
	v_add_f32_e64 v6, v6, 1.0                                  // 000000009594: D1010006 0001E506
	v_add_f32_e64 v7, v7, 1.0                                  // 00000000959C: D1010007 0001E507
	v_rcp_f32_e32 v4, v4                                       // 0000000095A4: 7E084504
	v_rcp_f32_e32 v5, v5                                       // 0000000095A8: 7E0A4505
	v_rcp_f32_e32 v6, v6                                       // 0000000095AC: 7E0C4506
	v_rcp_f32_e32 v7, v7                                       // 0000000095B0: 7E0E4507
	v_mul_f32_e32 v108, v108, v4                               // 0000000095B4: 0AD8096C
	v_mul_f32_e32 v109, v109, v5                               // 0000000095B8: 0ADA0B6D
	v_mul_f32_e32 v110, v110, v6                               // 0000000095BC: 0ADC0D6E
	v_mul_f32_e32 v111, v111, v7                               // 0000000095C0: 0ADE0F6F
	v_mul_f32_e32 v108, v108, v188                             // 0000000095C4: 0AD9796C
	v_mul_f32_e32 v109, v109, v189                             // 0000000095C8: 0ADB7B6D
	v_mul_f32_e32 v110, v110, v190                             // 0000000095CC: 0ADD7D6E
	v_mul_f32_e32 v111, v111, v191                             // 0000000095D0: 0ADF7F6F
	v_mul_f32_e64 v4, -v112, s6                                // 0000000095D4: D1050004 20000D70
	v_mul_f32_e64 v5, -v113, s6                                // 0000000095DC: D1050005 20000D71
	v_mul_f32_e64 v6, -v114, s6                                // 0000000095E4: D1050006 20000D72
	v_mul_f32_e64 v7, -v115, s6                                // 0000000095EC: D1050007 20000D73
	v_exp_f32_e32 v4, v4                                       // 0000000095F4: 7E084104
	v_exp_f32_e32 v5, v5                                       // 0000000095F8: 7E0A4105
	v_exp_f32_e32 v6, v6                                       // 0000000095FC: 7E0C4106
	v_exp_f32_e32 v7, v7                                       // 000000009600: 7E0E4107
	v_add_f32_e64 v4, v4, 1.0                                  // 000000009604: D1010004 0001E504
	v_add_f32_e64 v5, v5, 1.0                                  // 00000000960C: D1010005 0001E505
	v_add_f32_e64 v6, v6, 1.0                                  // 000000009614: D1010006 0001E506
	v_add_f32_e64 v7, v7, 1.0                                  // 00000000961C: D1010007 0001E507
	v_rcp_f32_e32 v4, v4                                       // 000000009624: 7E084504
	v_rcp_f32_e32 v5, v5                                       // 000000009628: 7E0A4505
	v_rcp_f32_e32 v6, v6                                       // 00000000962C: 7E0C4506
	v_rcp_f32_e32 v7, v7                                       // 000000009630: 7E0E4507
	v_mul_f32_e32 v112, v112, v4                               // 000000009634: 0AE00970
	v_mul_f32_e32 v113, v113, v5                               // 000000009638: 0AE20B71
	v_mul_f32_e32 v114, v114, v6                               // 00000000963C: 0AE40D72
	v_mul_f32_e32 v115, v115, v7                               // 000000009640: 0AE60F73
	v_mul_f32_e32 v112, v112, v192                             // 000000009644: 0AE18170
	v_mul_f32_e32 v113, v113, v193                             // 000000009648: 0AE38371
	v_mul_f32_e32 v114, v114, v194                             // 00000000964C: 0AE58572
	v_mul_f32_e32 v115, v115, v195                             // 000000009650: 0AE78773
	v_mul_f32_e64 v4, -v116, s6                                // 000000009654: D1050004 20000D74
	v_mul_f32_e64 v5, -v117, s6                                // 00000000965C: D1050005 20000D75
	v_mul_f32_e64 v6, -v118, s6                                // 000000009664: D1050006 20000D76
	v_mul_f32_e64 v7, -v119, s6                                // 00000000966C: D1050007 20000D77
	v_exp_f32_e32 v4, v4                                       // 000000009674: 7E084104
	v_exp_f32_e32 v5, v5                                       // 000000009678: 7E0A4105
	v_exp_f32_e32 v6, v6                                       // 00000000967C: 7E0C4106
	v_exp_f32_e32 v7, v7                                       // 000000009680: 7E0E4107
	v_add_f32_e64 v4, v4, 1.0                                  // 000000009684: D1010004 0001E504
	v_add_f32_e64 v5, v5, 1.0                                  // 00000000968C: D1010005 0001E505
	v_add_f32_e64 v6, v6, 1.0                                  // 000000009694: D1010006 0001E506
	v_add_f32_e64 v7, v7, 1.0                                  // 00000000969C: D1010007 0001E507
	v_rcp_f32_e32 v4, v4                                       // 0000000096A4: 7E084504
	v_rcp_f32_e32 v5, v5                                       // 0000000096A8: 7E0A4505
	v_rcp_f32_e32 v6, v6                                       // 0000000096AC: 7E0C4506
	v_rcp_f32_e32 v7, v7                                       // 0000000096B0: 7E0E4507
	v_mul_f32_e32 v116, v116, v4                               // 0000000096B4: 0AE80974
	v_mul_f32_e32 v117, v117, v5                               // 0000000096B8: 0AEA0B75
	v_mul_f32_e32 v118, v118, v6                               // 0000000096BC: 0AEC0D76
	v_mul_f32_e32 v119, v119, v7                               // 0000000096C0: 0AEE0F77
	v_mul_f32_e32 v116, v116, v196                             // 0000000096C4: 0AE98974
	v_mul_f32_e32 v117, v117, v197                             // 0000000096C8: 0AEB8B75
	v_mul_f32_e32 v118, v118, v198                             // 0000000096CC: 0AED8D76
	v_mul_f32_e32 v119, v119, v199                             // 0000000096D0: 0AEF8F77
	v_mul_f32_e64 v4, -v120, s6                                // 0000000096D4: D1050004 20000D78
	v_mul_f32_e64 v5, -v121, s6                                // 0000000096DC: D1050005 20000D79
	v_mul_f32_e64 v6, -v122, s6                                // 0000000096E4: D1050006 20000D7A
	v_mul_f32_e64 v7, -v123, s6                                // 0000000096EC: D1050007 20000D7B
	v_exp_f32_e32 v4, v4                                       // 0000000096F4: 7E084104
	v_exp_f32_e32 v5, v5                                       // 0000000096F8: 7E0A4105
	v_exp_f32_e32 v6, v6                                       // 0000000096FC: 7E0C4106
	v_exp_f32_e32 v7, v7                                       // 000000009700: 7E0E4107
	v_add_f32_e64 v4, v4, 1.0                                  // 000000009704: D1010004 0001E504
	v_add_f32_e64 v5, v5, 1.0                                  // 00000000970C: D1010005 0001E505
	v_add_f32_e64 v6, v6, 1.0                                  // 000000009714: D1010006 0001E506
	v_add_f32_e64 v7, v7, 1.0                                  // 00000000971C: D1010007 0001E507
	v_rcp_f32_e32 v4, v4                                       // 000000009724: 7E084504
	v_rcp_f32_e32 v5, v5                                       // 000000009728: 7E0A4505
	v_rcp_f32_e32 v6, v6                                       // 00000000972C: 7E0C4506
	v_rcp_f32_e32 v7, v7                                       // 000000009730: 7E0E4507
	v_mul_f32_e32 v120, v120, v4                               // 000000009734: 0AF00978
	v_mul_f32_e32 v121, v121, v5                               // 000000009738: 0AF20B79
	v_mul_f32_e32 v122, v122, v6                               // 00000000973C: 0AF40D7A
	v_mul_f32_e32 v123, v123, v7                               // 000000009740: 0AF60F7B
	v_mul_f32_e32 v120, v120, v200                             // 000000009744: 0AF19178
	v_mul_f32_e32 v121, v121, v201                             // 000000009748: 0AF39379
	v_mul_f32_e32 v122, v122, v202                             // 00000000974C: 0AF5957A
	v_mul_f32_e32 v123, v123, v203                             // 000000009750: 0AF7977B
	v_mul_f32_e64 v4, -v124, s6                                // 000000009754: D1050004 20000D7C
	v_mul_f32_e64 v5, -v125, s6                                // 00000000975C: D1050005 20000D7D
	v_mul_f32_e64 v6, -v126, s6                                // 000000009764: D1050006 20000D7E
	v_mul_f32_e64 v7, -v127, s6                                // 00000000976C: D1050007 20000D7F
	v_exp_f32_e32 v4, v4                                       // 000000009774: 7E084104
	v_exp_f32_e32 v5, v5                                       // 000000009778: 7E0A4105
	v_exp_f32_e32 v6, v6                                       // 00000000977C: 7E0C4106
	v_exp_f32_e32 v7, v7                                       // 000000009780: 7E0E4107
	v_add_f32_e64 v4, v4, 1.0                                  // 000000009784: D1010004 0001E504
	v_add_f32_e64 v5, v5, 1.0                                  // 00000000978C: D1010005 0001E505
	v_add_f32_e64 v6, v6, 1.0                                  // 000000009794: D1010006 0001E506
	v_add_f32_e64 v7, v7, 1.0                                  // 00000000979C: D1010007 0001E507
	v_rcp_f32_e32 v4, v4                                       // 0000000097A4: 7E084504
	v_rcp_f32_e32 v5, v5                                       // 0000000097A8: 7E0A4505
	v_rcp_f32_e32 v6, v6                                       // 0000000097AC: 7E0C4506
	v_rcp_f32_e32 v7, v7                                       // 0000000097B0: 7E0E4507
	v_mul_f32_e32 v124, v124, v4                               // 0000000097B4: 0AF8097C
	v_mul_f32_e32 v125, v125, v5                               // 0000000097B8: 0AFA0B7D
	v_mul_f32_e32 v126, v126, v6                               // 0000000097BC: 0AFC0D7E
	v_mul_f32_e32 v127, v127, v7                               // 0000000097C0: 0AFE0F7F
	v_mul_f32_e32 v124, v124, v204                             // 0000000097C4: 0AF9997C
	v_mul_f32_e32 v125, v125, v205                             // 0000000097C8: 0AFB9B7D
	v_mul_f32_e32 v126, v126, v206                             // 0000000097CC: 0AFD9D7E
	v_mul_f32_e32 v127, v127, v207                             // 0000000097D0: 0AFF9F7F
	v_mul_f32_e64 v4, -v128, s6                                // 0000000097D4: D1050004 20000D80
	v_mul_f32_e64 v5, -v129, s6                                // 0000000097DC: D1050005 20000D81
	v_mul_f32_e64 v6, -v130, s6                                // 0000000097E4: D1050006 20000D82
	v_mul_f32_e64 v7, -v131, s6                                // 0000000097EC: D1050007 20000D83
	v_exp_f32_e32 v4, v4                                       // 0000000097F4: 7E084104
	v_exp_f32_e32 v5, v5                                       // 0000000097F8: 7E0A4105
	v_exp_f32_e32 v6, v6                                       // 0000000097FC: 7E0C4106
	v_exp_f32_e32 v7, v7                                       // 000000009800: 7E0E4107
	v_add_f32_e64 v4, v4, 1.0                                  // 000000009804: D1010004 0001E504
	v_add_f32_e64 v5, v5, 1.0                                  // 00000000980C: D1010005 0001E505
	v_add_f32_e64 v6, v6, 1.0                                  // 000000009814: D1010006 0001E506
	v_add_f32_e64 v7, v7, 1.0                                  // 00000000981C: D1010007 0001E507
	v_rcp_f32_e32 v4, v4                                       // 000000009824: 7E084504
	v_rcp_f32_e32 v5, v5                                       // 000000009828: 7E0A4505
	v_rcp_f32_e32 v6, v6                                       // 00000000982C: 7E0C4506
	v_rcp_f32_e32 v7, v7                                       // 000000009830: 7E0E4507
	v_mul_f32_e32 v128, v128, v4                               // 000000009834: 0B000980
	v_mul_f32_e32 v129, v129, v5                               // 000000009838: 0B020B81
	v_mul_f32_e32 v130, v130, v6                               // 00000000983C: 0B040D82
	v_mul_f32_e32 v131, v131, v7                               // 000000009840: 0B060F83
	v_mul_f32_e32 v128, v128, v208                             // 000000009844: 0B01A180
	v_mul_f32_e32 v129, v129, v209                             // 000000009848: 0B03A381
	v_mul_f32_e32 v130, v130, v210                             // 00000000984C: 0B05A582
	v_mul_f32_e32 v131, v131, v211                             // 000000009850: 0B07A783
	v_mul_f32_e64 v4, -v132, s6                                // 000000009854: D1050004 20000D84
	v_mul_f32_e64 v5, -v133, s6                                // 00000000985C: D1050005 20000D85
	v_mul_f32_e64 v6, -v134, s6                                // 000000009864: D1050006 20000D86
	v_mul_f32_e64 v7, -v135, s6                                // 00000000986C: D1050007 20000D87
	v_exp_f32_e32 v4, v4                                       // 000000009874: 7E084104
	v_exp_f32_e32 v5, v5                                       // 000000009878: 7E0A4105
	v_exp_f32_e32 v6, v6                                       // 00000000987C: 7E0C4106
	v_exp_f32_e32 v7, v7                                       // 000000009880: 7E0E4107
	v_add_f32_e64 v4, v4, 1.0                                  // 000000009884: D1010004 0001E504
	v_add_f32_e64 v5, v5, 1.0                                  // 00000000988C: D1010005 0001E505
	v_add_f32_e64 v6, v6, 1.0                                  // 000000009894: D1010006 0001E506
	v_add_f32_e64 v7, v7, 1.0                                  // 00000000989C: D1010007 0001E507
	v_rcp_f32_e32 v4, v4                                       // 0000000098A4: 7E084504
	v_rcp_f32_e32 v5, v5                                       // 0000000098A8: 7E0A4505
	v_rcp_f32_e32 v6, v6                                       // 0000000098AC: 7E0C4506
	v_rcp_f32_e32 v7, v7                                       // 0000000098B0: 7E0E4507
	v_mul_f32_e32 v132, v132, v4                               // 0000000098B4: 0B080984
	v_mul_f32_e32 v133, v133, v5                               // 0000000098B8: 0B0A0B85
	v_mul_f32_e32 v134, v134, v6                               // 0000000098BC: 0B0C0D86
	v_mul_f32_e32 v135, v135, v7                               // 0000000098C0: 0B0E0F87
	v_mul_f32_e32 v132, v132, v212                             // 0000000098C4: 0B09A984
	v_mul_f32_e32 v133, v133, v213                             // 0000000098C8: 0B0BAB85
	v_mul_f32_e32 v134, v134, v214                             // 0000000098CC: 0B0DAD86
	v_mul_f32_e32 v135, v135, v215                             // 0000000098D0: 0B0FAF87
	v_mul_f32_e64 v4, -v136, s6                                // 0000000098D4: D1050004 20000D88
	v_mul_f32_e64 v5, -v137, s6                                // 0000000098DC: D1050005 20000D89
	v_mul_f32_e64 v6, -v138, s6                                // 0000000098E4: D1050006 20000D8A
	v_mul_f32_e64 v7, -v139, s6                                // 0000000098EC: D1050007 20000D8B
	v_exp_f32_e32 v4, v4                                       // 0000000098F4: 7E084104
	v_exp_f32_e32 v5, v5                                       // 0000000098F8: 7E0A4105
	v_exp_f32_e32 v6, v6                                       // 0000000098FC: 7E0C4106
	v_exp_f32_e32 v7, v7                                       // 000000009900: 7E0E4107
	v_add_f32_e64 v4, v4, 1.0                                  // 000000009904: D1010004 0001E504
	v_add_f32_e64 v5, v5, 1.0                                  // 00000000990C: D1010005 0001E505
	v_add_f32_e64 v6, v6, 1.0                                  // 000000009914: D1010006 0001E506
	v_add_f32_e64 v7, v7, 1.0                                  // 00000000991C: D1010007 0001E507
	v_rcp_f32_e32 v4, v4                                       // 000000009924: 7E084504
	v_rcp_f32_e32 v5, v5                                       // 000000009928: 7E0A4505
	v_rcp_f32_e32 v6, v6                                       // 00000000992C: 7E0C4506
	v_rcp_f32_e32 v7, v7                                       // 000000009930: 7E0E4507
	v_mul_f32_e32 v136, v136, v4                               // 000000009934: 0B100988
	v_mul_f32_e32 v137, v137, v5                               // 000000009938: 0B120B89
	v_mul_f32_e32 v138, v138, v6                               // 00000000993C: 0B140D8A
	v_mul_f32_e32 v139, v139, v7                               // 000000009940: 0B160F8B
	v_mul_f32_e32 v136, v136, v216                             // 000000009944: 0B11B188
	v_mul_f32_e32 v137, v137, v217                             // 000000009948: 0B13B389
	v_mul_f32_e32 v138, v138, v218                             // 00000000994C: 0B15B58A
	v_mul_f32_e32 v139, v139, v219                             // 000000009950: 0B17B78B
	v_mul_f32_e64 v4, -v140, s6                                // 000000009954: D1050004 20000D8C
	v_mul_f32_e64 v5, -v141, s6                                // 00000000995C: D1050005 20000D8D
	v_mul_f32_e64 v6, -v142, s6                                // 000000009964: D1050006 20000D8E
	v_mul_f32_e64 v7, -v143, s6                                // 00000000996C: D1050007 20000D8F
	v_exp_f32_e32 v4, v4                                       // 000000009974: 7E084104
	v_exp_f32_e32 v5, v5                                       // 000000009978: 7E0A4105
	v_exp_f32_e32 v6, v6                                       // 00000000997C: 7E0C4106
	v_exp_f32_e32 v7, v7                                       // 000000009980: 7E0E4107
	v_add_f32_e64 v4, v4, 1.0                                  // 000000009984: D1010004 0001E504
	v_add_f32_e64 v5, v5, 1.0                                  // 00000000998C: D1010005 0001E505
	v_add_f32_e64 v6, v6, 1.0                                  // 000000009994: D1010006 0001E506
	v_add_f32_e64 v7, v7, 1.0                                  // 00000000999C: D1010007 0001E507
	v_rcp_f32_e32 v4, v4                                       // 0000000099A4: 7E084504
	v_rcp_f32_e32 v5, v5                                       // 0000000099A8: 7E0A4505
	v_rcp_f32_e32 v6, v6                                       // 0000000099AC: 7E0C4506
	v_rcp_f32_e32 v7, v7                                       // 0000000099B0: 7E0E4507
	v_mul_f32_e32 v140, v140, v4                               // 0000000099B4: 0B18098C
	v_mul_f32_e32 v141, v141, v5                               // 0000000099B8: 0B1A0B8D
	v_mul_f32_e32 v142, v142, v6                               // 0000000099BC: 0B1C0D8E
	v_mul_f32_e32 v143, v143, v7                               // 0000000099C0: 0B1E0F8F
	v_mul_f32_e32 v140, v140, v220                             // 0000000099C4: 0B19B98C
	v_mul_f32_e32 v141, v141, v221                             // 0000000099C8: 0B1BBB8D
	v_mul_f32_e32 v142, v142, v222                             // 0000000099CC: 0B1DBD8E
	v_mul_f32_e32 v143, v143, v223                             // 0000000099D0: 0B1FBF8F

00000000000099d4 <label_1BF5>:
	s_cmp_eq_u32 s7, 0                                         // 0000000099D4: BF068007
	s_cbranch_scc0 label_1C08                                  // 0000000099D8: BF840011
	v_and_b32_e32 v4, 15, v0                                   // 0000000099DC: 2608008F
	v_lshlrev_b32_e32 v4, 2, v4                                // 0000000099E0: 24080882
	buffer_load_dword v30, v4, s[12:15], 0 offen               // 0000000099E4: E0501000 80031E04
	v_add_u32_e32 v4, 64, v4                                   // 0000000099EC: 680808C0
	buffer_load_dword v31, v4, s[12:15], 0 offen               // 0000000099F0: E0501000 80031F04
	v_add_u32_e32 v4, 64, v4                                   // 0000000099F8: 680808C0
	buffer_load_dword v32, v4, s[12:15], 0 offen               // 0000000099FC: E0501000 80032004
	v_add_u32_e32 v4, 64, v4                                   // 000000009A04: 680808C0
	buffer_load_dword v33, v4, s[12:15], 0 offen               // 000000009A08: E0501000 80032104
	v_add_u32_e32 v4, 64, v4                                   // 000000009A10: 680808C0
	buffer_load_dword v34, v4, s[12:15], 0 offen               // 000000009A14: E0501000 80032204
	v_add_u32_e32 v4, 64, v4                                   // 000000009A1C: 680808C0

0000000000009a20 <label_1C08>:
	v_lshlrev_b32_e32 v4, 2, v0                                // 000000009A20: 24080082
	s_mul_i32 s60, 0x100, s7                                   // 000000009A24: 923C07FF 00000100
	v_add_u32_e32 v154, s60, v4                                // 000000009A2C: 6934083C
	v_and_b32_e32 v4, 15, v0                                   // 000000009A30: 2608008F
	v_lshlrev_b32_e32 v155, 2, v4                              // 000000009A34: 25360882
	s_waitcnt lgkmcnt(0)                                       // 000000009A38: BF8CC07F
	s_barrier                                                  // 000000009A3C: BF8A0000
	v_mov_b32_e32 v144, 0x358637bd                             // 000000009A40: 7F2002FF 358637BD
	v_max3_f32 v144, |v64|, |v65|, v144                        // 000000009A48: D1D30390 06428340
	v_max3_f32 v144, |v66|, |v67|, v144                        // 000000009A50: D1D30390 06428742
	v_max3_f32 v144, |v84|, |v85|, v144                        // 000000009A58: D1D30390 0642AB54
	v_max3_f32 v144, |v86|, |v87|, v144                        // 000000009A60: D1D30390 0642AF56
	ds_write_b32 v154, v144                                    // 000000009A68: D81A0000 0000909A
	s_waitcnt lgkmcnt(0)                                       // 000000009A70: BF8CC07F
	s_barrier                                                  // 000000009A74: BF8A0000
	ds_read_b32 v4, v155                                       // 000000009A78: D86C0000 0400009B
	ds_read_b32 v5, v155 offset:64                             // 000000009A80: D86C0040 0500009B
	ds_read_b32 v6, v155 offset:128                            // 000000009A88: D86C0080 0600009B
	ds_read_b32 v7, v155 offset:192                            // 000000009A90: D86C00C0 0700009B
	ds_read_b32 v8, v155 offset:256                            // 000000009A98: D86C0100 0800009B
	ds_read_b32 v9, v155 offset:320                            // 000000009AA0: D86C0140 0900009B
	ds_read_b32 v10, v155 offset:384                           // 000000009AA8: D86C0180 0A00009B
	ds_read_b32 v11, v155 offset:448                           // 000000009AB0: D86C01C0 0B00009B
	ds_read_b32 v12, v155 offset:512                           // 000000009AB8: D86C0200 0C00009B
	ds_read_b32 v13, v155 offset:576                           // 000000009AC0: D86C0240 0D00009B
	ds_read_b32 v14, v155 offset:640                           // 000000009AC8: D86C0280 0E00009B
	ds_read_b32 v15, v155 offset:704                           // 000000009AD0: D86C02C0 0F00009B
	ds_read_b32 v16, v155 offset:768                           // 000000009AD8: D86C0300 1000009B
	ds_read_b32 v17, v155 offset:832                           // 000000009AE0: D86C0340 1100009B
	ds_read_b32 v18, v155 offset:896                           // 000000009AE8: D86C0380 1200009B
	ds_read_b32 v19, v155 offset:960                           // 000000009AF0: D86C03C0 1300009B
	s_waitcnt lgkmcnt(0)                                       // 000000009AF8: BF8CC07F
	s_barrier                                                  // 000000009AFC: BF8A0000
	v_max3_f32 v144, |v4|, |v5|, v144                          // 000000009B00: D1D30390 06420B04
	v_max3_f32 v144, |v6|, |v7|, v144                          // 000000009B08: D1D30390 06420F06
	v_max3_f32 v144, |v8|, |v9|, v144                          // 000000009B10: D1D30390 06421308
	v_max3_f32 v144, |v10|, |v11|, v144                        // 000000009B18: D1D30390 0642170A
	v_max3_f32 v144, |v12|, |v13|, v144                        // 000000009B20: D1D30390 06421B0C
	v_max3_f32 v144, |v14|, |v15|, v144                        // 000000009B28: D1D30390 06421F0E
	v_max3_f32 v144, |v16|, |v17|, v144                        // 000000009B30: D1D30390 06422310
	v_max3_f32 v144, |v18|, |v19|, v144                        // 000000009B38: D1D30390 06422712
	v_rcp_f32_e32 v144, v144                                   // 000000009B40: 7F204590
	v_mov_b32_e32 v4, 0x43700000                               // 000000009B44: 7E0802FF 43700000
	v_mul_f32_e32 v144, v4, v144                               // 000000009B4C: 0B212104
	v_mov_b32_e32 v4, v144                                     // 000000009B50: 7E080390
	v_mov_b32_e32 v5, v4                                       // 000000009B54: 7E0A0304
	v_pk_mul_f32 v[64:65], v[4:5], v[64:65]                    // 000000009B58: D3B14040 18028104
	v_pk_mul_f32 v[66:67], v[4:5], v[66:67]                    // 000000009B60: D3B14042 18028504
	v_cvt_pk_fp8_f32 v64, v64, v65                             // 000000009B68: D2A20040 00028340
	v_cvt_pk_fp8_f32 v64, v66, v67 op_sel:[0,0,1]              // 000000009B70: D2A24040 00028742
	v_pk_mul_f32 v[84:85], v[4:5], v[84:85]                    // 000000009B78: D3B14054 1802A904
	v_pk_mul_f32 v[86:87], v[4:5], v[86:87]                    // 000000009B80: D3B14056 1802AD04
	v_cvt_pk_fp8_f32 v84, v84, v85                             // 000000009B88: D2A20054 0002AB54
	v_cvt_pk_fp8_f32 v84, v86, v87 op_sel:[0,0,1]              // 000000009B90: D2A24054 0002AF56
	v_rcp_f32_e32 v144, v144                                   // 000000009B98: 7F204590
	v_mov_b32_e32 v149, 0x358637bd                             // 000000009B9C: 7F2A02FF 358637BD
	v_max3_f32 v149, |v104|, |v105|, v149                      // 000000009BA4: D1D30395 0656D368
	v_max3_f32 v149, |v106|, |v107|, v149                      // 000000009BAC: D1D30395 0656D76A
	v_max3_f32 v149, |v124|, |v125|, v149                      // 000000009BB4: D1D30395 0656FB7C
	v_max3_f32 v149, |v126|, |v127|, v149                      // 000000009BBC: D1D30395 0656FF7E
	ds_write_b32 v154, v149                                    // 000000009BC4: D81A0000 0000959A
	s_waitcnt lgkmcnt(0)                                       // 000000009BCC: BF8CC07F
	s_barrier                                                  // 000000009BD0: BF8A0000
	ds_read_b32 v4, v155                                       // 000000009BD4: D86C0000 0400009B
	ds_read_b32 v5, v155 offset:64                             // 000000009BDC: D86C0040 0500009B
	ds_read_b32 v6, v155 offset:128                            // 000000009BE4: D86C0080 0600009B
	ds_read_b32 v7, v155 offset:192                            // 000000009BEC: D86C00C0 0700009B
	ds_read_b32 v8, v155 offset:256                            // 000000009BF4: D86C0100 0800009B
	ds_read_b32 v9, v155 offset:320                            // 000000009BFC: D86C0140 0900009B
	ds_read_b32 v10, v155 offset:384                           // 000000009C04: D86C0180 0A00009B
	ds_read_b32 v11, v155 offset:448                           // 000000009C0C: D86C01C0 0B00009B
	ds_read_b32 v12, v155 offset:512                           // 000000009C14: D86C0200 0C00009B
	ds_read_b32 v13, v155 offset:576                           // 000000009C1C: D86C0240 0D00009B
	ds_read_b32 v14, v155 offset:640                           // 000000009C24: D86C0280 0E00009B
	ds_read_b32 v15, v155 offset:704                           // 000000009C2C: D86C02C0 0F00009B
	ds_read_b32 v16, v155 offset:768                           // 000000009C34: D86C0300 1000009B
	ds_read_b32 v17, v155 offset:832                           // 000000009C3C: D86C0340 1100009B
	ds_read_b32 v18, v155 offset:896                           // 000000009C44: D86C0380 1200009B
	ds_read_b32 v19, v155 offset:960                           // 000000009C4C: D86C03C0 1300009B
	s_waitcnt lgkmcnt(0)                                       // 000000009C54: BF8CC07F
	s_barrier                                                  // 000000009C58: BF8A0000
	v_max3_f32 v149, |v4|, |v5|, v149                          // 000000009C5C: D1D30395 06560B04
	v_max3_f32 v149, |v6|, |v7|, v149                          // 000000009C64: D1D30395 06560F06
	v_max3_f32 v149, |v8|, |v9|, v149                          // 000000009C6C: D1D30395 06561308
	v_max3_f32 v149, |v10|, |v11|, v149                        // 000000009C74: D1D30395 0656170A
	v_max3_f32 v149, |v12|, |v13|, v149                        // 000000009C7C: D1D30395 06561B0C
	v_max3_f32 v149, |v14|, |v15|, v149                        // 000000009C84: D1D30395 06561F0E
	v_max3_f32 v149, |v16|, |v17|, v149                        // 000000009C8C: D1D30395 06562310
	v_max3_f32 v149, |v18|, |v19|, v149                        // 000000009C94: D1D30395 06562712
	v_rcp_f32_e32 v149, v149                                   // 000000009C9C: 7F2A4595
	v_mov_b32_e32 v4, 0x43700000                               // 000000009CA0: 7E0802FF 43700000
	v_mul_f32_e32 v149, v4, v149                               // 000000009CA8: 0B2B2B04
	v_mov_b32_e32 v4, v149                                     // 000000009CAC: 7E080395
	v_mov_b32_e32 v5, v4                                       // 000000009CB0: 7E0A0304
	v_pk_mul_f32 v[104:105], v[4:5], v[104:105]                // 000000009CB4: D3B14068 1802D104
	v_pk_mul_f32 v[106:107], v[4:5], v[106:107]                // 000000009CBC: D3B1406A 1802D504
	v_cvt_pk_fp8_f32 v104, v104, v105                          // 000000009CC4: D2A20068 0002D368
	v_cvt_pk_fp8_f32 v104, v106, v107 op_sel:[0,0,1]           // 000000009CCC: D2A24068 0002D76A
	v_pk_mul_f32 v[124:125], v[4:5], v[124:125]                // 000000009CD4: D3B1407C 1802F904
	v_pk_mul_f32 v[126:127], v[4:5], v[126:127]                // 000000009CDC: D3B1407E 1802FD04
	v_cvt_pk_fp8_f32 v124, v124, v125                          // 000000009CE4: D2A2007C 0002FB7C
	v_cvt_pk_fp8_f32 v124, v126, v127 op_sel:[0,0,1]           // 000000009CEC: D2A2407C 0002FF7E
	v_rcp_f32_e32 v149, v149                                   // 000000009CF4: 7F2A4595
	v_mov_b32_e32 v145, 0x358637bd                             // 000000009CF8: 7F2202FF 358637BD
	v_max3_f32 v145, |v68|, |v69|, v145                        // 000000009D00: D1D30391 06468B44
	v_max3_f32 v145, |v70|, |v71|, v145                        // 000000009D08: D1D30391 06468F46
	v_max3_f32 v145, |v88|, |v89|, v145                        // 000000009D10: D1D30391 0646B358
	v_max3_f32 v145, |v90|, |v91|, v145                        // 000000009D18: D1D30391 0646B75A
	ds_write_b32 v154, v145                                    // 000000009D20: D81A0000 0000919A
	s_waitcnt lgkmcnt(0)                                       // 000000009D28: BF8CC07F
	s_barrier                                                  // 000000009D2C: BF8A0000
	ds_read_b32 v4, v155                                       // 000000009D30: D86C0000 0400009B
	ds_read_b32 v5, v155 offset:64                             // 000000009D38: D86C0040 0500009B
	ds_read_b32 v6, v155 offset:128                            // 000000009D40: D86C0080 0600009B
	ds_read_b32 v7, v155 offset:192                            // 000000009D48: D86C00C0 0700009B
	ds_read_b32 v8, v155 offset:256                            // 000000009D50: D86C0100 0800009B
	ds_read_b32 v9, v155 offset:320                            // 000000009D58: D86C0140 0900009B
	ds_read_b32 v10, v155 offset:384                           // 000000009D60: D86C0180 0A00009B
	ds_read_b32 v11, v155 offset:448                           // 000000009D68: D86C01C0 0B00009B
	ds_read_b32 v12, v155 offset:512                           // 000000009D70: D86C0200 0C00009B
	ds_read_b32 v13, v155 offset:576                           // 000000009D78: D86C0240 0D00009B
	ds_read_b32 v14, v155 offset:640                           // 000000009D80: D86C0280 0E00009B
	ds_read_b32 v15, v155 offset:704                           // 000000009D88: D86C02C0 0F00009B
	ds_read_b32 v16, v155 offset:768                           // 000000009D90: D86C0300 1000009B
	ds_read_b32 v17, v155 offset:832                           // 000000009D98: D86C0340 1100009B
	ds_read_b32 v18, v155 offset:896                           // 000000009DA0: D86C0380 1200009B
	ds_read_b32 v19, v155 offset:960                           // 000000009DA8: D86C03C0 1300009B
	s_waitcnt lgkmcnt(0)                                       // 000000009DB0: BF8CC07F
	s_barrier                                                  // 000000009DB4: BF8A0000
	v_max3_f32 v145, |v4|, |v5|, v145                          // 000000009DB8: D1D30391 06460B04
	v_max3_f32 v145, |v6|, |v7|, v145                          // 000000009DC0: D1D30391 06460F06
	v_max3_f32 v145, |v8|, |v9|, v145                          // 000000009DC8: D1D30391 06461308
	v_max3_f32 v145, |v10|, |v11|, v145                        // 000000009DD0: D1D30391 0646170A
	v_max3_f32 v145, |v12|, |v13|, v145                        // 000000009DD8: D1D30391 06461B0C
	v_max3_f32 v145, |v14|, |v15|, v145                        // 000000009DE0: D1D30391 06461F0E
	v_max3_f32 v145, |v16|, |v17|, v145                        // 000000009DE8: D1D30391 06462310
	v_max3_f32 v145, |v18|, |v19|, v145                        // 000000009DF0: D1D30391 06462712
	v_rcp_f32_e32 v145, v145                                   // 000000009DF8: 7F224591
	v_mov_b32_e32 v4, 0x43700000                               // 000000009DFC: 7E0802FF 43700000
	v_mul_f32_e32 v145, v4, v145                               // 000000009E04: 0B232304
	v_mov_b32_e32 v4, v145                                     // 000000009E08: 7E080391
	v_mov_b32_e32 v5, v4                                       // 000000009E0C: 7E0A0304
	v_pk_mul_f32 v[68:69], v[4:5], v[68:69]                    // 000000009E10: D3B14044 18028904
	v_pk_mul_f32 v[70:71], v[4:5], v[70:71]                    // 000000009E18: D3B14046 18028D04
	v_cvt_pk_fp8_f32 v68, v68, v69                             // 000000009E20: D2A20044 00028B44
	v_cvt_pk_fp8_f32 v68, v70, v71 op_sel:[0,0,1]              // 000000009E28: D2A24044 00028F46
	v_pk_mul_f32 v[88:89], v[4:5], v[88:89]                    // 000000009E30: D3B14058 1802B104
	v_pk_mul_f32 v[90:91], v[4:5], v[90:91]                    // 000000009E38: D3B1405A 1802B504
	v_cvt_pk_fp8_f32 v88, v88, v89                             // 000000009E40: D2A20058 0002B358
	v_cvt_pk_fp8_f32 v88, v90, v91 op_sel:[0,0,1]              // 000000009E48: D2A24058 0002B75A
	v_rcp_f32_e32 v145, v145                                   // 000000009E50: 7F224591
	v_mov_b32_e32 v150, 0x358637bd                             // 000000009E54: 7F2C02FF 358637BD
	v_max3_f32 v150, |v108|, |v109|, v150                      // 000000009E5C: D1D30396 065ADB6C
	v_max3_f32 v150, |v110|, |v111|, v150                      // 000000009E64: D1D30396 065ADF6E
	v_max3_f32 v150, |v128|, |v129|, v150                      // 000000009E6C: D1D30396 065B0380
	v_max3_f32 v150, |v130|, |v131|, v150                      // 000000009E74: D1D30396 065B0782
	ds_write_b32 v154, v150                                    // 000000009E7C: D81A0000 0000969A
	s_waitcnt lgkmcnt(0)                                       // 000000009E84: BF8CC07F
	s_barrier                                                  // 000000009E88: BF8A0000
	ds_read_b32 v4, v155                                       // 000000009E8C: D86C0000 0400009B
	ds_read_b32 v5, v155 offset:64                             // 000000009E94: D86C0040 0500009B
	ds_read_b32 v6, v155 offset:128                            // 000000009E9C: D86C0080 0600009B
	ds_read_b32 v7, v155 offset:192                            // 000000009EA4: D86C00C0 0700009B
	ds_read_b32 v8, v155 offset:256                            // 000000009EAC: D86C0100 0800009B
	ds_read_b32 v9, v155 offset:320                            // 000000009EB4: D86C0140 0900009B
	ds_read_b32 v10, v155 offset:384                           // 000000009EBC: D86C0180 0A00009B
	ds_read_b32 v11, v155 offset:448                           // 000000009EC4: D86C01C0 0B00009B
	ds_read_b32 v12, v155 offset:512                           // 000000009ECC: D86C0200 0C00009B
	ds_read_b32 v13, v155 offset:576                           // 000000009ED4: D86C0240 0D00009B
	ds_read_b32 v14, v155 offset:640                           // 000000009EDC: D86C0280 0E00009B
	ds_read_b32 v15, v155 offset:704                           // 000000009EE4: D86C02C0 0F00009B
	ds_read_b32 v16, v155 offset:768                           // 000000009EEC: D86C0300 1000009B
	ds_read_b32 v17, v155 offset:832                           // 000000009EF4: D86C0340 1100009B
	ds_read_b32 v18, v155 offset:896                           // 000000009EFC: D86C0380 1200009B
	ds_read_b32 v19, v155 offset:960                           // 000000009F04: D86C03C0 1300009B
	s_waitcnt lgkmcnt(0)                                       // 000000009F0C: BF8CC07F
	s_barrier                                                  // 000000009F10: BF8A0000
	v_max3_f32 v150, |v4|, |v5|, v150                          // 000000009F14: D1D30396 065A0B04
	v_max3_f32 v150, |v6|, |v7|, v150                          // 000000009F1C: D1D30396 065A0F06
	v_max3_f32 v150, |v8|, |v9|, v150                          // 000000009F24: D1D30396 065A1308
	v_max3_f32 v150, |v10|, |v11|, v150                        // 000000009F2C: D1D30396 065A170A
	v_max3_f32 v150, |v12|, |v13|, v150                        // 000000009F34: D1D30396 065A1B0C
	v_max3_f32 v150, |v14|, |v15|, v150                        // 000000009F3C: D1D30396 065A1F0E
	v_max3_f32 v150, |v16|, |v17|, v150                        // 000000009F44: D1D30396 065A2310
	v_max3_f32 v150, |v18|, |v19|, v150                        // 000000009F4C: D1D30396 065A2712
	v_rcp_f32_e32 v150, v150                                   // 000000009F54: 7F2C4596
	v_mov_b32_e32 v4, 0x43700000                               // 000000009F58: 7E0802FF 43700000
	v_mul_f32_e32 v150, v4, v150                               // 000000009F60: 0B2D2D04
	v_mov_b32_e32 v4, v150                                     // 000000009F64: 7E080396
	v_mov_b32_e32 v5, v4                                       // 000000009F68: 7E0A0304
	v_pk_mul_f32 v[108:109], v[4:5], v[108:109]                // 000000009F6C: D3B1406C 1802D904
	v_pk_mul_f32 v[110:111], v[4:5], v[110:111]                // 000000009F74: D3B1406E 1802DD04
	v_cvt_pk_fp8_f32 v108, v108, v109                          // 000000009F7C: D2A2006C 0002DB6C
	v_cvt_pk_fp8_f32 v108, v110, v111 op_sel:[0,0,1]           // 000000009F84: D2A2406C 0002DF6E
	v_pk_mul_f32 v[128:129], v[4:5], v[128:129]                // 000000009F8C: D3B14080 18030104
	v_pk_mul_f32 v[130:131], v[4:5], v[130:131]                // 000000009F94: D3B14082 18030504
	v_cvt_pk_fp8_f32 v128, v128, v129                          // 000000009F9C: D2A20080 00030380
	v_cvt_pk_fp8_f32 v128, v130, v131 op_sel:[0,0,1]           // 000000009FA4: D2A24080 00030782
	v_rcp_f32_e32 v150, v150                                   // 000000009FAC: 7F2C4596
	v_mov_b32_e32 v146, 0x358637bd                             // 000000009FB0: 7F2402FF 358637BD
	v_max3_f32 v146, |v72|, |v73|, v146                        // 000000009FB8: D1D30392 064A9348
	v_max3_f32 v146, |v74|, |v75|, v146                        // 000000009FC0: D1D30392 064A974A
	v_max3_f32 v146, |v92|, |v93|, v146                        // 000000009FC8: D1D30392 064ABB5C
	v_max3_f32 v146, |v94|, |v95|, v146                        // 000000009FD0: D1D30392 064ABF5E
	ds_write_b32 v154, v146                                    // 000000009FD8: D81A0000 0000929A
	s_waitcnt lgkmcnt(0)                                       // 000000009FE0: BF8CC07F
	s_barrier                                                  // 000000009FE4: BF8A0000
	ds_read_b32 v4, v155                                       // 000000009FE8: D86C0000 0400009B
	ds_read_b32 v5, v155 offset:64                             // 000000009FF0: D86C0040 0500009B
	ds_read_b32 v6, v155 offset:128                            // 000000009FF8: D86C0080 0600009B
	ds_read_b32 v7, v155 offset:192                            // 00000000A000: D86C00C0 0700009B
	ds_read_b32 v8, v155 offset:256                            // 00000000A008: D86C0100 0800009B
	ds_read_b32 v9, v155 offset:320                            // 00000000A010: D86C0140 0900009B
	ds_read_b32 v10, v155 offset:384                           // 00000000A018: D86C0180 0A00009B
	ds_read_b32 v11, v155 offset:448                           // 00000000A020: D86C01C0 0B00009B
	ds_read_b32 v12, v155 offset:512                           // 00000000A028: D86C0200 0C00009B
	ds_read_b32 v13, v155 offset:576                           // 00000000A030: D86C0240 0D00009B
	ds_read_b32 v14, v155 offset:640                           // 00000000A038: D86C0280 0E00009B
	ds_read_b32 v15, v155 offset:704                           // 00000000A040: D86C02C0 0F00009B
	ds_read_b32 v16, v155 offset:768                           // 00000000A048: D86C0300 1000009B
	ds_read_b32 v17, v155 offset:832                           // 00000000A050: D86C0340 1100009B
	ds_read_b32 v18, v155 offset:896                           // 00000000A058: D86C0380 1200009B
	ds_read_b32 v19, v155 offset:960                           // 00000000A060: D86C03C0 1300009B
	s_waitcnt lgkmcnt(0)                                       // 00000000A068: BF8CC07F
	s_barrier                                                  // 00000000A06C: BF8A0000
	v_max3_f32 v146, |v4|, |v5|, v146                          // 00000000A070: D1D30392 064A0B04
	v_max3_f32 v146, |v6|, |v7|, v146                          // 00000000A078: D1D30392 064A0F06
	v_max3_f32 v146, |v8|, |v9|, v146                          // 00000000A080: D1D30392 064A1308
	v_max3_f32 v146, |v10|, |v11|, v146                        // 00000000A088: D1D30392 064A170A
	v_max3_f32 v146, |v12|, |v13|, v146                        // 00000000A090: D1D30392 064A1B0C
	v_max3_f32 v146, |v14|, |v15|, v146                        // 00000000A098: D1D30392 064A1F0E
	v_max3_f32 v146, |v16|, |v17|, v146                        // 00000000A0A0: D1D30392 064A2310
	v_max3_f32 v146, |v18|, |v19|, v146                        // 00000000A0A8: D1D30392 064A2712
	v_rcp_f32_e32 v146, v146                                   // 00000000A0B0: 7F244592
	v_mov_b32_e32 v4, 0x43700000                               // 00000000A0B4: 7E0802FF 43700000
	v_mul_f32_e32 v146, v4, v146                               // 00000000A0BC: 0B252504
	v_mov_b32_e32 v4, v146                                     // 00000000A0C0: 7E080392
	v_mov_b32_e32 v5, v4                                       // 00000000A0C4: 7E0A0304
	v_pk_mul_f32 v[72:73], v[4:5], v[72:73]                    // 00000000A0C8: D3B14048 18029104
	v_pk_mul_f32 v[74:75], v[4:5], v[74:75]                    // 00000000A0D0: D3B1404A 18029504
	v_cvt_pk_fp8_f32 v72, v72, v73                             // 00000000A0D8: D2A20048 00029348
	v_cvt_pk_fp8_f32 v72, v74, v75 op_sel:[0,0,1]              // 00000000A0E0: D2A24048 0002974A
	v_pk_mul_f32 v[92:93], v[4:5], v[92:93]                    // 00000000A0E8: D3B1405C 1802B904
	v_pk_mul_f32 v[94:95], v[4:5], v[94:95]                    // 00000000A0F0: D3B1405E 1802BD04
	v_cvt_pk_fp8_f32 v92, v92, v93                             // 00000000A0F8: D2A2005C 0002BB5C
	v_cvt_pk_fp8_f32 v92, v94, v95 op_sel:[0,0,1]              // 00000000A100: D2A2405C 0002BF5E
	v_rcp_f32_e32 v146, v146                                   // 00000000A108: 7F244592
	v_mov_b32_e32 v151, 0x358637bd                             // 00000000A10C: 7F2E02FF 358637BD
	v_max3_f32 v151, |v112|, |v113|, v151                      // 00000000A114: D1D30397 065EE370
	v_max3_f32 v151, |v114|, |v115|, v151                      // 00000000A11C: D1D30397 065EE772
	v_max3_f32 v151, |v132|, |v133|, v151                      // 00000000A124: D1D30397 065F0B84
	v_max3_f32 v151, |v134|, |v135|, v151                      // 00000000A12C: D1D30397 065F0F86
	ds_write_b32 v154, v151                                    // 00000000A134: D81A0000 0000979A
	s_waitcnt lgkmcnt(0)                                       // 00000000A13C: BF8CC07F
	s_barrier                                                  // 00000000A140: BF8A0000
	ds_read_b32 v4, v155                                       // 00000000A144: D86C0000 0400009B
	ds_read_b32 v5, v155 offset:64                             // 00000000A14C: D86C0040 0500009B
	ds_read_b32 v6, v155 offset:128                            // 00000000A154: D86C0080 0600009B
	ds_read_b32 v7, v155 offset:192                            // 00000000A15C: D86C00C0 0700009B
	ds_read_b32 v8, v155 offset:256                            // 00000000A164: D86C0100 0800009B
	ds_read_b32 v9, v155 offset:320                            // 00000000A16C: D86C0140 0900009B
	ds_read_b32 v10, v155 offset:384                           // 00000000A174: D86C0180 0A00009B
	ds_read_b32 v11, v155 offset:448                           // 00000000A17C: D86C01C0 0B00009B
	ds_read_b32 v12, v155 offset:512                           // 00000000A184: D86C0200 0C00009B
	ds_read_b32 v13, v155 offset:576                           // 00000000A18C: D86C0240 0D00009B
	ds_read_b32 v14, v155 offset:640                           // 00000000A194: D86C0280 0E00009B
	ds_read_b32 v15, v155 offset:704                           // 00000000A19C: D86C02C0 0F00009B
	ds_read_b32 v16, v155 offset:768                           // 00000000A1A4: D86C0300 1000009B
	ds_read_b32 v17, v155 offset:832                           // 00000000A1AC: D86C0340 1100009B
	ds_read_b32 v18, v155 offset:896                           // 00000000A1B4: D86C0380 1200009B
	ds_read_b32 v19, v155 offset:960                           // 00000000A1BC: D86C03C0 1300009B
	s_waitcnt lgkmcnt(0)                                       // 00000000A1C4: BF8CC07F
	s_barrier                                                  // 00000000A1C8: BF8A0000
	v_max3_f32 v151, |v4|, |v5|, v151                          // 00000000A1CC: D1D30397 065E0B04
	v_max3_f32 v151, |v6|, |v7|, v151                          // 00000000A1D4: D1D30397 065E0F06
	v_max3_f32 v151, |v8|, |v9|, v151                          // 00000000A1DC: D1D30397 065E1308
	v_max3_f32 v151, |v10|, |v11|, v151                        // 00000000A1E4: D1D30397 065E170A
	v_max3_f32 v151, |v12|, |v13|, v151                        // 00000000A1EC: D1D30397 065E1B0C
	v_max3_f32 v151, |v14|, |v15|, v151                        // 00000000A1F4: D1D30397 065E1F0E
	v_max3_f32 v151, |v16|, |v17|, v151                        // 00000000A1FC: D1D30397 065E2310
	v_max3_f32 v151, |v18|, |v19|, v151                        // 00000000A204: D1D30397 065E2712
	v_rcp_f32_e32 v151, v151                                   // 00000000A20C: 7F2E4597
	v_mov_b32_e32 v4, 0x43700000                               // 00000000A210: 7E0802FF 43700000
	v_mul_f32_e32 v151, v4, v151                               // 00000000A218: 0B2F2F04
	v_mov_b32_e32 v4, v151                                     // 00000000A21C: 7E080397
	v_mov_b32_e32 v5, v4                                       // 00000000A220: 7E0A0304
	v_pk_mul_f32 v[112:113], v[4:5], v[112:113]                // 00000000A224: D3B14070 1802E104
	v_pk_mul_f32 v[114:115], v[4:5], v[114:115]                // 00000000A22C: D3B14072 1802E504
	v_cvt_pk_fp8_f32 v112, v112, v113                          // 00000000A234: D2A20070 0002E370
	v_cvt_pk_fp8_f32 v112, v114, v115 op_sel:[0,0,1]           // 00000000A23C: D2A24070 0002E772
	v_pk_mul_f32 v[132:133], v[4:5], v[132:133]                // 00000000A244: D3B14084 18030904
	v_pk_mul_f32 v[134:135], v[4:5], v[134:135]                // 00000000A24C: D3B14086 18030D04
	v_cvt_pk_fp8_f32 v132, v132, v133                          // 00000000A254: D2A20084 00030B84
	v_cvt_pk_fp8_f32 v132, v134, v135 op_sel:[0,0,1]           // 00000000A25C: D2A24084 00030F86
	v_rcp_f32_e32 v151, v151                                   // 00000000A264: 7F2E4597
	v_mov_b32_e32 v147, 0x358637bd                             // 00000000A268: 7F2602FF 358637BD
	v_max3_f32 v147, |v76|, |v77|, v147                        // 00000000A270: D1D30393 064E9B4C
	v_max3_f32 v147, |v78|, |v79|, v147                        // 00000000A278: D1D30393 064E9F4E
	v_max3_f32 v147, |v96|, |v97|, v147                        // 00000000A280: D1D30393 064EC360
	v_max3_f32 v147, |v98|, |v99|, v147                        // 00000000A288: D1D30393 064EC762
	ds_write_b32 v154, v147                                    // 00000000A290: D81A0000 0000939A
	s_waitcnt lgkmcnt(0)                                       // 00000000A298: BF8CC07F
	s_barrier                                                  // 00000000A29C: BF8A0000
	ds_read_b32 v4, v155                                       // 00000000A2A0: D86C0000 0400009B
	ds_read_b32 v5, v155 offset:64                             // 00000000A2A8: D86C0040 0500009B
	ds_read_b32 v6, v155 offset:128                            // 00000000A2B0: D86C0080 0600009B
	ds_read_b32 v7, v155 offset:192                            // 00000000A2B8: D86C00C0 0700009B
	ds_read_b32 v8, v155 offset:256                            // 00000000A2C0: D86C0100 0800009B
	ds_read_b32 v9, v155 offset:320                            // 00000000A2C8: D86C0140 0900009B
	ds_read_b32 v10, v155 offset:384                           // 00000000A2D0: D86C0180 0A00009B
	ds_read_b32 v11, v155 offset:448                           // 00000000A2D8: D86C01C0 0B00009B
	ds_read_b32 v12, v155 offset:512                           // 00000000A2E0: D86C0200 0C00009B
	ds_read_b32 v13, v155 offset:576                           // 00000000A2E8: D86C0240 0D00009B
	ds_read_b32 v14, v155 offset:640                           // 00000000A2F0: D86C0280 0E00009B
	ds_read_b32 v15, v155 offset:704                           // 00000000A2F8: D86C02C0 0F00009B
	ds_read_b32 v16, v155 offset:768                           // 00000000A300: D86C0300 1000009B
	ds_read_b32 v17, v155 offset:832                           // 00000000A308: D86C0340 1100009B
	ds_read_b32 v18, v155 offset:896                           // 00000000A310: D86C0380 1200009B
	ds_read_b32 v19, v155 offset:960                           // 00000000A318: D86C03C0 1300009B
	s_waitcnt lgkmcnt(0)                                       // 00000000A320: BF8CC07F
	s_barrier                                                  // 00000000A324: BF8A0000
	v_max3_f32 v147, |v4|, |v5|, v147                          // 00000000A328: D1D30393 064E0B04
	v_max3_f32 v147, |v6|, |v7|, v147                          // 00000000A330: D1D30393 064E0F06
	v_max3_f32 v147, |v8|, |v9|, v147                          // 00000000A338: D1D30393 064E1308
	v_max3_f32 v147, |v10|, |v11|, v147                        // 00000000A340: D1D30393 064E170A
	v_max3_f32 v147, |v12|, |v13|, v147                        // 00000000A348: D1D30393 064E1B0C
	v_max3_f32 v147, |v14|, |v15|, v147                        // 00000000A350: D1D30393 064E1F0E
	v_max3_f32 v147, |v16|, |v17|, v147                        // 00000000A358: D1D30393 064E2310
	v_max3_f32 v147, |v18|, |v19|, v147                        // 00000000A360: D1D30393 064E2712
	v_rcp_f32_e32 v147, v147                                   // 00000000A368: 7F264593
	v_mov_b32_e32 v4, 0x43700000                               // 00000000A36C: 7E0802FF 43700000
	v_mul_f32_e32 v147, v4, v147                               // 00000000A374: 0B272704
	v_mov_b32_e32 v4, v147                                     // 00000000A378: 7E080393
	v_mov_b32_e32 v5, v4                                       // 00000000A37C: 7E0A0304
	v_pk_mul_f32 v[76:77], v[4:5], v[76:77]                    // 00000000A380: D3B1404C 18029904
	v_pk_mul_f32 v[78:79], v[4:5], v[78:79]                    // 00000000A388: D3B1404E 18029D04
	v_cvt_pk_fp8_f32 v76, v76, v77                             // 00000000A390: D2A2004C 00029B4C
	v_cvt_pk_fp8_f32 v76, v78, v79 op_sel:[0,0,1]              // 00000000A398: D2A2404C 00029F4E
	v_pk_mul_f32 v[96:97], v[4:5], v[96:97]                    // 00000000A3A0: D3B14060 1802C104
	v_pk_mul_f32 v[98:99], v[4:5], v[98:99]                    // 00000000A3A8: D3B14062 1802C504
	v_cvt_pk_fp8_f32 v96, v96, v97                             // 00000000A3B0: D2A20060 0002C360
	v_cvt_pk_fp8_f32 v96, v98, v99 op_sel:[0,0,1]              // 00000000A3B8: D2A24060 0002C762
	v_rcp_f32_e32 v147, v147                                   // 00000000A3C0: 7F264593
	v_mov_b32_e32 v152, 0x358637bd                             // 00000000A3C4: 7F3002FF 358637BD
	v_max3_f32 v152, |v116|, |v117|, v152                      // 00000000A3CC: D1D30398 0662EB74
	v_max3_f32 v152, |v118|, |v119|, v152                      // 00000000A3D4: D1D30398 0662EF76
	v_max3_f32 v152, |v136|, |v137|, v152                      // 00000000A3DC: D1D30398 06631388
	v_max3_f32 v152, |v138|, |v139|, v152                      // 00000000A3E4: D1D30398 0663178A
	ds_write_b32 v154, v152                                    // 00000000A3EC: D81A0000 0000989A
	s_waitcnt lgkmcnt(0)                                       // 00000000A3F4: BF8CC07F
	s_barrier                                                  // 00000000A3F8: BF8A0000
	ds_read_b32 v4, v155                                       // 00000000A3FC: D86C0000 0400009B
	ds_read_b32 v5, v155 offset:64                             // 00000000A404: D86C0040 0500009B
	ds_read_b32 v6, v155 offset:128                            // 00000000A40C: D86C0080 0600009B
	ds_read_b32 v7, v155 offset:192                            // 00000000A414: D86C00C0 0700009B
	ds_read_b32 v8, v155 offset:256                            // 00000000A41C: D86C0100 0800009B
	ds_read_b32 v9, v155 offset:320                            // 00000000A424: D86C0140 0900009B
	ds_read_b32 v10, v155 offset:384                           // 00000000A42C: D86C0180 0A00009B
	ds_read_b32 v11, v155 offset:448                           // 00000000A434: D86C01C0 0B00009B
	ds_read_b32 v12, v155 offset:512                           // 00000000A43C: D86C0200 0C00009B
	ds_read_b32 v13, v155 offset:576                           // 00000000A444: D86C0240 0D00009B
	ds_read_b32 v14, v155 offset:640                           // 00000000A44C: D86C0280 0E00009B
	ds_read_b32 v15, v155 offset:704                           // 00000000A454: D86C02C0 0F00009B
	ds_read_b32 v16, v155 offset:768                           // 00000000A45C: D86C0300 1000009B
	ds_read_b32 v17, v155 offset:832                           // 00000000A464: D86C0340 1100009B
	ds_read_b32 v18, v155 offset:896                           // 00000000A46C: D86C0380 1200009B
	ds_read_b32 v19, v155 offset:960                           // 00000000A474: D86C03C0 1300009B
	s_waitcnt lgkmcnt(0)                                       // 00000000A47C: BF8CC07F
	s_barrier                                                  // 00000000A480: BF8A0000
	v_max3_f32 v152, |v4|, |v5|, v152                          // 00000000A484: D1D30398 06620B04
	v_max3_f32 v152, |v6|, |v7|, v152                          // 00000000A48C: D1D30398 06620F06
	v_max3_f32 v152, |v8|, |v9|, v152                          // 00000000A494: D1D30398 06621308
	v_max3_f32 v152, |v10|, |v11|, v152                        // 00000000A49C: D1D30398 0662170A
	v_max3_f32 v152, |v12|, |v13|, v152                        // 00000000A4A4: D1D30398 06621B0C
	v_max3_f32 v152, |v14|, |v15|, v152                        // 00000000A4AC: D1D30398 06621F0E
	v_max3_f32 v152, |v16|, |v17|, v152                        // 00000000A4B4: D1D30398 06622310
	v_max3_f32 v152, |v18|, |v19|, v152                        // 00000000A4BC: D1D30398 06622712
	v_rcp_f32_e32 v152, v152                                   // 00000000A4C4: 7F304598
	v_mov_b32_e32 v4, 0x43700000                               // 00000000A4C8: 7E0802FF 43700000
	v_mul_f32_e32 v152, v4, v152                               // 00000000A4D0: 0B313104
	v_mov_b32_e32 v4, v152                                     // 00000000A4D4: 7E080398
	v_mov_b32_e32 v5, v4                                       // 00000000A4D8: 7E0A0304
	v_pk_mul_f32 v[116:117], v[4:5], v[116:117]                // 00000000A4DC: D3B14074 1802E904
	v_pk_mul_f32 v[118:119], v[4:5], v[118:119]                // 00000000A4E4: D3B14076 1802ED04
	v_cvt_pk_fp8_f32 v116, v116, v117                          // 00000000A4EC: D2A20074 0002EB74
	v_cvt_pk_fp8_f32 v116, v118, v119 op_sel:[0,0,1]           // 00000000A4F4: D2A24074 0002EF76
	v_pk_mul_f32 v[136:137], v[4:5], v[136:137]                // 00000000A4FC: D3B14088 18031104
	v_pk_mul_f32 v[138:139], v[4:5], v[138:139]                // 00000000A504: D3B1408A 18031504
	v_cvt_pk_fp8_f32 v136, v136, v137                          // 00000000A50C: D2A20088 00031388
	v_cvt_pk_fp8_f32 v136, v138, v139 op_sel:[0,0,1]           // 00000000A514: D2A24088 0003178A
	v_rcp_f32_e32 v152, v152                                   // 00000000A51C: 7F304598
	v_mov_b32_e32 v148, 0x358637bd                             // 00000000A520: 7F2802FF 358637BD
	v_max3_f32 v148, |v80|, |v81|, v148                        // 00000000A528: D1D30394 0652A350
	v_max3_f32 v148, |v82|, |v83|, v148                        // 00000000A530: D1D30394 0652A752
	v_max3_f32 v148, |v100|, |v101|, v148                      // 00000000A538: D1D30394 0652CB64
	v_max3_f32 v148, |v102|, |v103|, v148                      // 00000000A540: D1D30394 0652CF66
	ds_write_b32 v154, v148                                    // 00000000A548: D81A0000 0000949A
	s_waitcnt lgkmcnt(0)                                       // 00000000A550: BF8CC07F
	s_barrier                                                  // 00000000A554: BF8A0000
	ds_read_b32 v4, v155                                       // 00000000A558: D86C0000 0400009B
	ds_read_b32 v5, v155 offset:64                             // 00000000A560: D86C0040 0500009B
	ds_read_b32 v6, v155 offset:128                            // 00000000A568: D86C0080 0600009B
	ds_read_b32 v7, v155 offset:192                            // 00000000A570: D86C00C0 0700009B
	ds_read_b32 v8, v155 offset:256                            // 00000000A578: D86C0100 0800009B
	ds_read_b32 v9, v155 offset:320                            // 00000000A580: D86C0140 0900009B
	ds_read_b32 v10, v155 offset:384                           // 00000000A588: D86C0180 0A00009B
	ds_read_b32 v11, v155 offset:448                           // 00000000A590: D86C01C0 0B00009B
	ds_read_b32 v12, v155 offset:512                           // 00000000A598: D86C0200 0C00009B
	ds_read_b32 v13, v155 offset:576                           // 00000000A5A0: D86C0240 0D00009B
	ds_read_b32 v14, v155 offset:640                           // 00000000A5A8: D86C0280 0E00009B
	ds_read_b32 v15, v155 offset:704                           // 00000000A5B0: D86C02C0 0F00009B
	ds_read_b32 v16, v155 offset:768                           // 00000000A5B8: D86C0300 1000009B
	ds_read_b32 v17, v155 offset:832                           // 00000000A5C0: D86C0340 1100009B
	ds_read_b32 v18, v155 offset:896                           // 00000000A5C8: D86C0380 1200009B
	ds_read_b32 v19, v155 offset:960                           // 00000000A5D0: D86C03C0 1300009B
	s_waitcnt lgkmcnt(0)                                       // 00000000A5D8: BF8CC07F
	s_barrier                                                  // 00000000A5DC: BF8A0000
	v_max3_f32 v148, |v4|, |v5|, v148                          // 00000000A5E0: D1D30394 06520B04
	v_max3_f32 v148, |v6|, |v7|, v148                          // 00000000A5E8: D1D30394 06520F06
	v_max3_f32 v148, |v8|, |v9|, v148                          // 00000000A5F0: D1D30394 06521308
	v_max3_f32 v148, |v10|, |v11|, v148                        // 00000000A5F8: D1D30394 0652170A
	v_max3_f32 v148, |v12|, |v13|, v148                        // 00000000A600: D1D30394 06521B0C
	v_max3_f32 v148, |v14|, |v15|, v148                        // 00000000A608: D1D30394 06521F0E
	v_max3_f32 v148, |v16|, |v17|, v148                        // 00000000A610: D1D30394 06522310
	v_max3_f32 v148, |v18|, |v19|, v148                        // 00000000A618: D1D30394 06522712
	v_rcp_f32_e32 v148, v148                                   // 00000000A620: 7F284594
	v_mov_b32_e32 v4, 0x43700000                               // 00000000A624: 7E0802FF 43700000
	v_mul_f32_e32 v148, v4, v148                               // 00000000A62C: 0B292904
	v_mov_b32_e32 v4, v148                                     // 00000000A630: 7E080394
	v_mov_b32_e32 v5, v4                                       // 00000000A634: 7E0A0304
	v_pk_mul_f32 v[80:81], v[4:5], v[80:81]                    // 00000000A638: D3B14050 1802A104
	v_pk_mul_f32 v[82:83], v[4:5], v[82:83]                    // 00000000A640: D3B14052 1802A504
	v_cvt_pk_fp8_f32 v80, v80, v81                             // 00000000A648: D2A20050 0002A350
	v_cvt_pk_fp8_f32 v80, v82, v83 op_sel:[0,0,1]              // 00000000A650: D2A24050 0002A752
	v_pk_mul_f32 v[100:101], v[4:5], v[100:101]                // 00000000A658: D3B14064 1802C904
	v_pk_mul_f32 v[102:103], v[4:5], v[102:103]                // 00000000A660: D3B14066 1802CD04
	v_cvt_pk_fp8_f32 v100, v100, v101                          // 00000000A668: D2A20064 0002CB64
	v_cvt_pk_fp8_f32 v100, v102, v103 op_sel:[0,0,1]           // 00000000A670: D2A24064 0002CF66
	v_rcp_f32_e32 v148, v148                                   // 00000000A678: 7F284594
	v_mov_b32_e32 v153, 0x358637bd                             // 00000000A67C: 7F3202FF 358637BD
	v_max3_f32 v153, |v120|, |v121|, v153                      // 00000000A684: D1D30399 0666F378
	v_max3_f32 v153, |v122|, |v123|, v153                      // 00000000A68C: D1D30399 0666F77A
	v_max3_f32 v153, |v140|, |v141|, v153                      // 00000000A694: D1D30399 06671B8C
	v_max3_f32 v153, |v142|, |v143|, v153                      // 00000000A69C: D1D30399 06671F8E
	ds_write_b32 v154, v153                                    // 00000000A6A4: D81A0000 0000999A
	s_waitcnt lgkmcnt(0)                                       // 00000000A6AC: BF8CC07F
	s_barrier                                                  // 00000000A6B0: BF8A0000
	ds_read_b32 v4, v155                                       // 00000000A6B4: D86C0000 0400009B
	ds_read_b32 v5, v155 offset:64                             // 00000000A6BC: D86C0040 0500009B
	ds_read_b32 v6, v155 offset:128                            // 00000000A6C4: D86C0080 0600009B
	ds_read_b32 v7, v155 offset:192                            // 00000000A6CC: D86C00C0 0700009B
	ds_read_b32 v8, v155 offset:256                            // 00000000A6D4: D86C0100 0800009B
	ds_read_b32 v9, v155 offset:320                            // 00000000A6DC: D86C0140 0900009B
	ds_read_b32 v10, v155 offset:384                           // 00000000A6E4: D86C0180 0A00009B
	ds_read_b32 v11, v155 offset:448                           // 00000000A6EC: D86C01C0 0B00009B
	ds_read_b32 v12, v155 offset:512                           // 00000000A6F4: D86C0200 0C00009B
	ds_read_b32 v13, v155 offset:576                           // 00000000A6FC: D86C0240 0D00009B
	ds_read_b32 v14, v155 offset:640                           // 00000000A704: D86C0280 0E00009B
	ds_read_b32 v15, v155 offset:704                           // 00000000A70C: D86C02C0 0F00009B
	ds_read_b32 v16, v155 offset:768                           // 00000000A714: D86C0300 1000009B
	ds_read_b32 v17, v155 offset:832                           // 00000000A71C: D86C0340 1100009B
	ds_read_b32 v18, v155 offset:896                           // 00000000A724: D86C0380 1200009B
	ds_read_b32 v19, v155 offset:960                           // 00000000A72C: D86C03C0 1300009B
	s_waitcnt lgkmcnt(0)                                       // 00000000A734: BF8CC07F
	s_barrier                                                  // 00000000A738: BF8A0000
	v_max3_f32 v153, |v4|, |v5|, v153                          // 00000000A73C: D1D30399 06660B04
	v_max3_f32 v153, |v6|, |v7|, v153                          // 00000000A744: D1D30399 06660F06
	v_max3_f32 v153, |v8|, |v9|, v153                          // 00000000A74C: D1D30399 06661308
	v_max3_f32 v153, |v10|, |v11|, v153                        // 00000000A754: D1D30399 0666170A
	v_max3_f32 v153, |v12|, |v13|, v153                        // 00000000A75C: D1D30399 06661B0C
	v_max3_f32 v153, |v14|, |v15|, v153                        // 00000000A764: D1D30399 06661F0E
	v_max3_f32 v153, |v16|, |v17|, v153                        // 00000000A76C: D1D30399 06662310
	v_max3_f32 v153, |v18|, |v19|, v153                        // 00000000A774: D1D30399 06662712
	v_rcp_f32_e32 v153, v153                                   // 00000000A77C: 7F324599
	v_mov_b32_e32 v4, 0x43700000                               // 00000000A780: 7E0802FF 43700000
	v_mul_f32_e32 v153, v4, v153                               // 00000000A788: 0B333304
	v_mov_b32_e32 v4, v153                                     // 00000000A78C: 7E080399
	v_mov_b32_e32 v5, v4                                       // 00000000A790: 7E0A0304
	v_pk_mul_f32 v[120:121], v[4:5], v[120:121]                // 00000000A794: D3B14078 1802F104
	v_pk_mul_f32 v[122:123], v[4:5], v[122:123]                // 00000000A79C: D3B1407A 1802F504
	v_cvt_pk_fp8_f32 v120, v120, v121                          // 00000000A7A4: D2A20078 0002F378
	v_cvt_pk_fp8_f32 v120, v122, v123 op_sel:[0,0,1]           // 00000000A7AC: D2A24078 0002F77A
	v_pk_mul_f32 v[140:141], v[4:5], v[140:141]                // 00000000A7B4: D3B1408C 18031904
	v_pk_mul_f32 v[142:143], v[4:5], v[142:143]                // 00000000A7BC: D3B1408E 18031D04
	v_cvt_pk_fp8_f32 v140, v140, v141                          // 00000000A7C4: D2A2008C 00031B8C
	v_cvt_pk_fp8_f32 v140, v142, v143 op_sel:[0,0,1]           // 00000000A7CC: D2A2408C 00031F8E
	v_rcp_f32_e32 v153, v153                                   // 00000000A7D4: 7F324599
	v_lshrrev_b32_e32 v4, 5, v0                                // 00000000A7D8: 20080085
	v_mul_lo_u32 v20, 34, v4                                   // 00000000A7DC: D2850014 000208A2
	v_and_b32_e32 v4, 31, v0                                   // 00000000A7E4: 2608009F
	v_lshrrev_b32_e32 v5, 4, v4                                // 00000000A7E8: 200A0884
	v_add_u32_e32 v20, v5, v20                                 // 00000000A7EC: 68282905
	v_and_b32_e32 v4, 15, v0                                   // 00000000A7F0: 2608008F
	v_mul_lo_u32 v5, 2, v4                                     // 00000000A7F4: D2850005 00020882
	v_add_u32_e32 v20, v5, v20                                 // 00000000A7FC: 68282905
	s_mul_i32 s60, s7, 0x44                                    // 00000000A800: 923CFF07 00000044
	v_add_u32_e32 v20, s60, v20                                // 00000000A808: 6828283C
	v_lshlrev_b32_e32 v20, 2, v20                              // 00000000A80C: 24282882
	ds_write_b32 v20, v64                                      // 00000000A810: D81A0000 00004014
	ds_write_b32 v20, v68 offset:4352                          // 00000000A818: D81A1100 00004414
	ds_write_b32 v20, v72 offset:8704                          // 00000000A820: D81A2200 00004814
	ds_write_b32 v20, v76 offset:13056                         // 00000000A828: D81A3300 00004C14
	ds_write_b32 v20, v80 offset:17408                         // 00000000A830: D81A4400 00005014
	ds_write_b32 v20, v84 offset:1088                          // 00000000A838: D81A0440 00005414
	ds_write_b32 v20, v88 offset:5440                          // 00000000A840: D81A1540 00005814
	ds_write_b32 v20, v92 offset:9792                          // 00000000A848: D81A2640 00005C14
	ds_write_b32 v20, v96 offset:14144                         // 00000000A850: D81A3740 00006014
	ds_write_b32 v20, v100 offset:18496                        // 00000000A858: D81A4840 00006414
	ds_write_b32 v20, v104 offset:2176                         // 00000000A860: D81A0880 00006814
	ds_write_b32 v20, v108 offset:6528                         // 00000000A868: D81A1980 00006C14
	ds_write_b32 v20, v112 offset:10880                        // 00000000A870: D81A2A80 00007014
	ds_write_b32 v20, v116 offset:15232                        // 00000000A878: D81A3B80 00007414
	ds_write_b32 v20, v120 offset:19584                        // 00000000A880: D81A4C80 00007814
	ds_write_b32 v20, v124 offset:3264                         // 00000000A888: D81A0CC0 00007C14
	ds_write_b32 v20, v128 offset:7616                         // 00000000A890: D81A1DC0 00008014
	ds_write_b32 v20, v132 offset:11968                        // 00000000A898: D81A2EC0 00008414
	ds_write_b32 v20, v136 offset:16320                        // 00000000A8A0: D81A3FC0 00008814
	ds_write_b32 v20, v140 offset:20672                        // 00000000A8A8: D81A50C0 00008C14
	v_lshrrev_b32_e32 v4, 5, v0                                // 00000000A8B0: 20080085
	v_xor_b32_e32 v5, 1, v4                                    // 00000000A8B4: 2A0A0881
	s_mul_i32 s60, s65, 1                                      // 00000000A8B8: 923C8141
	s_cmp_eq_u32 s88, 0                                        // 00000000A8BC: BF068058
	s_cselect_b32 s61, 1, 8                                    // 00000000A8C0: 853D8881
	s_mul_i32 s60, s61, s60                                    // 00000000A8C4: 923C3C3D
	v_readlane_b32 s82, v3, 0                                  // 00000000A8C8: D2890052 00010103
	s_lshr_b32 s61, s82, 24                                    // 00000000A8D0: 8F3D9852
	s_and_b32 s82, s82, 0xffffff                               // 00000000A8D4: 8652FF52 00FFFFFF
	s_mul_i32 s82, s82, s71                                    // 00000000A8DC: 92524752
	s_mul_i32 s61, s60, s61                                    // 00000000A8E0: 923D3D3C
	s_add_u32 s82, s82, s61                                    // 00000000A8E4: 80523D52
	v_mul_lo_u32 v6, v5, s82                                   // 00000000A8E8: D2850006 0000A505
	v_readlane_b32 s82, v3, 1                                  // 00000000A8F0: D2890052 00010303
	s_lshr_b32 s61, s82, 24                                    // 00000000A8F8: 8F3D9852
	s_and_b32 s82, s82, 0xffffff                               // 00000000A8FC: 8652FF52 00FFFFFF
	s_mul_i32 s82, s82, s71                                    // 00000000A904: 92524752
	s_mul_i32 s61, s60, s61                                    // 00000000A908: 923D3D3C
	s_add_u32 s82, s82, s61                                    // 00000000A90C: 80523D52
	v_mul_lo_u32 v7, v4, s82                                   // 00000000A910: D2850007 0000A504
	v_add_u32_e32 v50, v6, v7                                  // 00000000A918: 68640F06
	v_readlane_b32 s82, v3, 2                                  // 00000000A91C: D2890052 00010503
	s_lshr_b32 s61, s82, 24                                    // 00000000A924: 8F3D9852
	s_and_b32 s82, s82, 0xffffff                               // 00000000A928: 8652FF52 00FFFFFF
	s_mul_i32 s82, s82, s71                                    // 00000000A930: 92524752
	s_mul_i32 s61, s60, s61                                    // 00000000A934: 923D3D3C
	s_add_u32 s82, s82, s61                                    // 00000000A938: 80523D52
	v_mul_lo_u32 v6, v5, s82                                   // 00000000A93C: D2850006 0000A505
	v_readlane_b32 s82, v3, 3                                  // 00000000A944: D2890052 00010703
	s_lshr_b32 s61, s82, 24                                    // 00000000A94C: 8F3D9852
	s_and_b32 s82, s82, 0xffffff                               // 00000000A950: 8652FF52 00FFFFFF
	s_mul_i32 s82, s82, s71                                    // 00000000A958: 92524752
	s_mul_i32 s61, s60, s61                                    // 00000000A95C: 923D3D3C
	s_add_u32 s82, s82, s61                                    // 00000000A960: 80523D52
	v_mul_lo_u32 v7, v4, s82                                   // 00000000A964: D2850007 0000A504
	v_add_u32_e32 v51, v6, v7                                  // 00000000A96C: 68660F06
	v_readlane_b32 s82, v3, 4                                  // 00000000A970: D2890052 00010903
	s_lshr_b32 s61, s82, 24                                    // 00000000A978: 8F3D9852
	s_and_b32 s82, s82, 0xffffff                               // 00000000A97C: 8652FF52 00FFFFFF
	s_mul_i32 s82, s82, s71                                    // 00000000A984: 92524752
	s_mul_i32 s61, s60, s61                                    // 00000000A988: 923D3D3C
	s_add_u32 s82, s82, s61                                    // 00000000A98C: 80523D52
	v_mul_lo_u32 v6, v5, s82                                   // 00000000A990: D2850006 0000A505
	v_readlane_b32 s82, v3, 5                                  // 00000000A998: D2890052 00010B03
	s_lshr_b32 s61, s82, 24                                    // 00000000A9A0: 8F3D9852
	s_and_b32 s82, s82, 0xffffff                               // 00000000A9A4: 8652FF52 00FFFFFF
	s_mul_i32 s82, s82, s71                                    // 00000000A9AC: 92524752
	s_mul_i32 s61, s60, s61                                    // 00000000A9B0: 923D3D3C
	s_add_u32 s82, s82, s61                                    // 00000000A9B4: 80523D52
	v_mul_lo_u32 v7, v4, s82                                   // 00000000A9B8: D2850007 0000A504
	v_add_u32_e32 v52, v6, v7                                  // 00000000A9C0: 68680F06
	v_readlane_b32 s82, v3, 6                                  // 00000000A9C4: D2890052 00010D03
	s_lshr_b32 s61, s82, 24                                    // 00000000A9CC: 8F3D9852
	s_and_b32 s82, s82, 0xffffff                               // 00000000A9D0: 8652FF52 00FFFFFF
	s_mul_i32 s82, s82, s71                                    // 00000000A9D8: 92524752
	s_mul_i32 s61, s60, s61                                    // 00000000A9DC: 923D3D3C
	s_add_u32 s82, s82, s61                                    // 00000000A9E0: 80523D52
	v_mul_lo_u32 v6, v5, s82                                   // 00000000A9E4: D2850006 0000A505
	v_readlane_b32 s82, v3, 7                                  // 00000000A9EC: D2890052 00010F03
	s_lshr_b32 s61, s82, 24                                    // 00000000A9F4: 8F3D9852
	s_and_b32 s82, s82, 0xffffff                               // 00000000A9F8: 8652FF52 00FFFFFF
	s_mul_i32 s82, s82, s71                                    // 00000000AA00: 92524752
	s_mul_i32 s61, s60, s61                                    // 00000000AA04: 923D3D3C
	s_add_u32 s82, s82, s61                                    // 00000000AA08: 80523D52
	v_mul_lo_u32 v7, v4, s82                                   // 00000000AA0C: D2850007 0000A504
	v_add_u32_e32 v53, v6, v7                                  // 00000000AA14: 686A0F06
	v_readlane_b32 s82, v3, 8                                  // 00000000AA18: D2890052 00011103
	s_lshr_b32 s61, s82, 24                                    // 00000000AA20: 8F3D9852
	s_and_b32 s82, s82, 0xffffff                               // 00000000AA24: 8652FF52 00FFFFFF
	s_mul_i32 s82, s82, s71                                    // 00000000AA2C: 92524752
	s_mul_i32 s61, s60, s61                                    // 00000000AA30: 923D3D3C
	s_add_u32 s82, s82, s61                                    // 00000000AA34: 80523D52
	v_mul_lo_u32 v6, v5, s82                                   // 00000000AA38: D2850006 0000A505
	v_readlane_b32 s82, v3, 9                                  // 00000000AA40: D2890052 00011303
	s_lshr_b32 s61, s82, 24                                    // 00000000AA48: 8F3D9852
	s_and_b32 s82, s82, 0xffffff                               // 00000000AA4C: 8652FF52 00FFFFFF
	s_mul_i32 s82, s82, s71                                    // 00000000AA54: 92524752
	s_mul_i32 s61, s60, s61                                    // 00000000AA58: 923D3D3C
	s_add_u32 s82, s82, s61                                    // 00000000AA5C: 80523D52
	v_mul_lo_u32 v7, v4, s82                                   // 00000000AA60: D2850007 0000A504
	v_add_u32_e32 v54, v6, v7                                  // 00000000AA68: 686C0F06
	v_readlane_b32 s82, v3, 10                                 // 00000000AA6C: D2890052 00011503
	s_lshr_b32 s61, s82, 24                                    // 00000000AA74: 8F3D9852
	s_and_b32 s82, s82, 0xffffff                               // 00000000AA78: 8652FF52 00FFFFFF
	s_mul_i32 s82, s82, s71                                    // 00000000AA80: 92524752
	s_mul_i32 s61, s60, s61                                    // 00000000AA84: 923D3D3C
	s_add_u32 s82, s82, s61                                    // 00000000AA88: 80523D52
	v_mul_lo_u32 v6, v5, s82                                   // 00000000AA8C: D2850006 0000A505
	v_readlane_b32 s82, v3, 11                                 // 00000000AA94: D2890052 00011703
	s_lshr_b32 s61, s82, 24                                    // 00000000AA9C: 8F3D9852
	s_and_b32 s82, s82, 0xffffff                               // 00000000AAA0: 8652FF52 00FFFFFF
	s_mul_i32 s82, s82, s71                                    // 00000000AAA8: 92524752
	s_mul_i32 s61, s60, s61                                    // 00000000AAAC: 923D3D3C
	s_add_u32 s82, s82, s61                                    // 00000000AAB0: 80523D52
	v_mul_lo_u32 v7, v4, s82                                   // 00000000AAB4: D2850007 0000A504
	v_add_u32_e32 v55, v6, v7                                  // 00000000AABC: 686E0F06
	v_readlane_b32 s82, v3, 12                                 // 00000000AAC0: D2890052 00011903
	s_lshr_b32 s61, s82, 24                                    // 00000000AAC8: 8F3D9852
	s_and_b32 s82, s82, 0xffffff                               // 00000000AACC: 8652FF52 00FFFFFF
	s_mul_i32 s82, s82, s71                                    // 00000000AAD4: 92524752
	s_mul_i32 s61, s60, s61                                    // 00000000AAD8: 923D3D3C
	s_add_u32 s82, s82, s61                                    // 00000000AADC: 80523D52
	v_mul_lo_u32 v6, v5, s82                                   // 00000000AAE0: D2850006 0000A505
	v_readlane_b32 s82, v3, 13                                 // 00000000AAE8: D2890052 00011B03
	s_lshr_b32 s61, s82, 24                                    // 00000000AAF0: 8F3D9852
	s_and_b32 s82, s82, 0xffffff                               // 00000000AAF4: 8652FF52 00FFFFFF
	s_mul_i32 s82, s82, s71                                    // 00000000AAFC: 92524752
	s_mul_i32 s61, s60, s61                                    // 00000000AB00: 923D3D3C
	s_add_u32 s82, s82, s61                                    // 00000000AB04: 80523D52
	v_mul_lo_u32 v7, v4, s82                                   // 00000000AB08: D2850007 0000A504
	v_add_u32_e32 v56, v6, v7                                  // 00000000AB10: 68700F06
	v_readlane_b32 s82, v3, 14                                 // 00000000AB14: D2890052 00011D03
	s_lshr_b32 s61, s82, 24                                    // 00000000AB1C: 8F3D9852
	s_and_b32 s82, s82, 0xffffff                               // 00000000AB20: 8652FF52 00FFFFFF
	s_mul_i32 s82, s82, s71                                    // 00000000AB28: 92524752
	s_mul_i32 s61, s60, s61                                    // 00000000AB2C: 923D3D3C
	s_add_u32 s82, s82, s61                                    // 00000000AB30: 80523D52
	v_mul_lo_u32 v6, v5, s82                                   // 00000000AB34: D2850006 0000A505
	v_readlane_b32 s82, v3, 15                                 // 00000000AB3C: D2890052 00011F03
	s_lshr_b32 s61, s82, 24                                    // 00000000AB44: 8F3D9852
	s_and_b32 s82, s82, 0xffffff                               // 00000000AB48: 8652FF52 00FFFFFF
	s_mul_i32 s82, s82, s71                                    // 00000000AB50: 92524752
	s_mul_i32 s61, s60, s61                                    // 00000000AB54: 923D3D3C
	s_add_u32 s82, s82, s61                                    // 00000000AB58: 80523D52
	v_mul_lo_u32 v7, v4, s82                                   // 00000000AB5C: D2850007 0000A504
	v_add_u32_e32 v57, v6, v7                                  // 00000000AB64: 68720F06
	v_readlane_b32 s82, v3, 16                                 // 00000000AB68: D2890052 00012103
	s_lshr_b32 s61, s82, 24                                    // 00000000AB70: 8F3D9852
	s_and_b32 s82, s82, 0xffffff                               // 00000000AB74: 8652FF52 00FFFFFF
	s_mul_i32 s82, s82, s71                                    // 00000000AB7C: 92524752
	s_mul_i32 s61, s60, s61                                    // 00000000AB80: 923D3D3C
	s_add_u32 s82, s82, s61                                    // 00000000AB84: 80523D52
	v_mul_lo_u32 v6, v5, s82                                   // 00000000AB88: D2850006 0000A505
	v_readlane_b32 s82, v3, 17                                 // 00000000AB90: D2890052 00012303
	s_lshr_b32 s61, s82, 24                                    // 00000000AB98: 8F3D9852
	s_and_b32 s82, s82, 0xffffff                               // 00000000AB9C: 8652FF52 00FFFFFF
	s_mul_i32 s82, s82, s71                                    // 00000000ABA4: 92524752
	s_mul_i32 s61, s60, s61                                    // 00000000ABA8: 923D3D3C
	s_add_u32 s82, s82, s61                                    // 00000000ABAC: 80523D52
	v_mul_lo_u32 v7, v4, s82                                   // 00000000ABB0: D2850007 0000A504
	v_add_u32_e32 v58, v6, v7                                  // 00000000ABB8: 68740F06
	v_readlane_b32 s82, v3, 18                                 // 00000000ABBC: D2890052 00012503
	s_lshr_b32 s61, s82, 24                                    // 00000000ABC4: 8F3D9852
	s_and_b32 s82, s82, 0xffffff                               // 00000000ABC8: 8652FF52 00FFFFFF
	s_mul_i32 s82, s82, s71                                    // 00000000ABD0: 92524752
	s_mul_i32 s61, s60, s61                                    // 00000000ABD4: 923D3D3C
	s_add_u32 s82, s82, s61                                    // 00000000ABD8: 80523D52
	v_mul_lo_u32 v6, v5, s82                                   // 00000000ABDC: D2850006 0000A505
	v_readlane_b32 s82, v3, 19                                 // 00000000ABE4: D2890052 00012703
	s_lshr_b32 s61, s82, 24                                    // 00000000ABEC: 8F3D9852
	s_and_b32 s82, s82, 0xffffff                               // 00000000ABF0: 8652FF52 00FFFFFF
	s_mul_i32 s82, s82, s71                                    // 00000000ABF8: 92524752
	s_mul_i32 s61, s60, s61                                    // 00000000ABFC: 923D3D3C
	s_add_u32 s82, s82, s61                                    // 00000000AC00: 80523D52
	v_mul_lo_u32 v7, v4, s82                                   // 00000000AC04: D2850007 0000A504
	v_add_u32_e32 v59, v6, v7                                  // 00000000AC0C: 68760F06
	v_and_b32_e32 v4, 31, v0                                   // 00000000AC10: 2608009F
	v_lshrrev_b32_e32 v4, 1, v4                                // 00000000AC14: 20080881
	s_cmp_eq_u32 s88, 0                                        // 00000000AC18: BF068058
	s_cselect_b32 s61, 2, 4                                    // 00000000AC1C: 853D8482
	v_mul_lo_u32 v4, v4, s61                                   // 00000000AC20: D2850004 00007B04
	v_and_b32_e64 v5, v0, 1                                    // 00000000AC28: D1130005 00010300
	v_add_u32_e32 v4, v4, v5                                   // 00000000AC30: 68080B04
	v_lshlrev_b32_e32 v4, 2, v4                                // 00000000AC34: 24080882
	v_add_u32_e32 v50, v50, v4                                 // 00000000AC38: 68640932
	v_add_u32_e32 v51, v51, v4                                 // 00000000AC3C: 68660933
	v_add_u32_e32 v52, v52, v4                                 // 00000000AC40: 68680934
	v_add_u32_e32 v53, v53, v4                                 // 00000000AC44: 686A0935
	v_add_u32_e32 v54, v54, v4                                 // 00000000AC48: 686C0936
	v_add_u32_e32 v55, v55, v4                                 // 00000000AC4C: 686E0937
	v_add_u32_e32 v56, v56, v4                                 // 00000000AC50: 68700938
	v_add_u32_e32 v57, v57, v4                                 // 00000000AC54: 68720939
	v_add_u32_e32 v58, v58, v4                                 // 00000000AC58: 6874093A
	v_add_u32_e32 v59, v59, v4                                 // 00000000AC5C: 6876093B
	s_waitcnt lgkmcnt(0)                                       // 00000000AC60: BF8CC07F
	s_barrier                                                  // 00000000AC64: BF8A0000
	ds_read_b32 v64, v21                                       // 00000000AC68: D86C0000 40000015
	ds_read_b32 v65, v21 offset:64                             // 00000000AC70: D86C0040 41000015
	ds_read_b32 v66, v21 offset:2176                           // 00000000AC78: D86C0880 42000015
	ds_read_b32 v67, v21 offset:2240                           // 00000000AC80: D86C08C0 43000015
	ds_read_b32 v68, v21 offset:4352                           // 00000000AC88: D86C1100 44000015
	ds_read_b32 v69, v21 offset:4416                           // 00000000AC90: D86C1140 45000015
	ds_read_b32 v70, v21 offset:6528                           // 00000000AC98: D86C1980 46000015
	ds_read_b32 v71, v21 offset:6592                           // 00000000ACA0: D86C19C0 47000015
	ds_read_b32 v72, v21 offset:8704                           // 00000000ACA8: D86C2200 48000015
	ds_read_b32 v73, v21 offset:8768                           // 00000000ACB0: D86C2240 49000015
	ds_read_b32 v74, v21 offset:10880                          // 00000000ACB8: D86C2A80 4A000015
	ds_read_b32 v75, v21 offset:10944                          // 00000000ACC0: D86C2AC0 4B000015
	ds_read_b32 v76, v21 offset:13056                          // 00000000ACC8: D86C3300 4C000015
	ds_read_b32 v77, v21 offset:13120                          // 00000000ACD0: D86C3340 4D000015
	ds_read_b32 v78, v21 offset:15232                          // 00000000ACD8: D86C3B80 4E000015
	ds_read_b32 v79, v21 offset:15296                          // 00000000ACE0: D86C3BC0 4F000015
	ds_read_b32 v80, v21 offset:17408                          // 00000000ACE8: D86C4400 50000015
	ds_read_b32 v81, v21 offset:17472                          // 00000000ACF0: D86C4440 51000015
	ds_read_b32 v82, v21 offset:19584                          // 00000000ACF8: D86C4C80 52000015
	ds_read_b32 v83, v21 offset:19648                          // 00000000AD00: D86C4CC0 53000015
	s_waitcnt lgkmcnt(0)                                       // 00000000AD08: BF8CC07F
	s_mov_b32 s36, -1                                          // 00000000AD0C: BEA400C1
	s_mov_b32 s37, -1                                          // 00000000AD10: BEA500C1
	v_mov_b32_e32 v7, 0                                        // 00000000AD14: 7E0E0280
	s_or_b32 s9, s9, 0x40000                                   // 00000000AD18: 8709FF09 00040000
	s_mov_b64 exec, s[36:37]                                   // 00000000AD20: BEFE0124
	v_mov_b32_e32 v6, v50                                      // 00000000AD24: 7E0C0332
	s_mov_b64 s[60:61], 0                                      // 00000000AD28: BEBC0180
	v_readlane_b32 s82, v3, 0                                  // 00000000AD2C: D2890052 00010103
	s_and_b32 s82, s82, 0xffffff                               // 00000000AD34: 8652FF52 00FFFFFF
	s_cmp_lt_u32 s82, s66                                      // 00000000AD3C: BF0A4252
	s_cselect_b32 s20, s36, s60                                // 00000000AD40: 85143C24
	v_readlane_b32 s82, v3, 1                                  // 00000000AD44: D2890052 00010303
	s_and_b32 s82, s82, 0xffffff                               // 00000000AD4C: 8652FF52 00FFFFFF
	s_cmp_lt_u32 s82, s66                                      // 00000000AD54: BF0A4252
	s_cselect_b32 s21, s36, s60                                // 00000000AD58: 85153C24
	s_mov_b64 exec, s[20:21]                                   // 00000000AD5C: BEFE0114
	buffer_store_dword v64, v6, s[8:11], 0 offen               // 00000000AD60: E0701000 80024006
	buffer_store_dword v66, v6, s[8:11], 0 offen offset:128    // 00000000AD68: E0701080 80024206
	s_mov_b64 exec, s[36:37]                                   // 00000000AD70: BEFE0124
	v_mov_b32_e32 v6, v51                                      // 00000000AD74: 7E0C0333
	s_mov_b64 s[60:61], 0                                      // 00000000AD78: BEBC0180
	v_readlane_b32 s82, v3, 2                                  // 00000000AD7C: D2890052 00010503
	s_and_b32 s82, s82, 0xffffff                               // 00000000AD84: 8652FF52 00FFFFFF
	s_cmp_lt_u32 s82, s66                                      // 00000000AD8C: BF0A4252
	s_cselect_b32 s20, s36, s60                                // 00000000AD90: 85143C24
	v_readlane_b32 s82, v3, 3                                  // 00000000AD94: D2890052 00010703
	s_and_b32 s82, s82, 0xffffff                               // 00000000AD9C: 8652FF52 00FFFFFF
	s_cmp_lt_u32 s82, s66                                      // 00000000ADA4: BF0A4252
	s_cselect_b32 s21, s36, s60                                // 00000000ADA8: 85153C24
	s_mov_b64 exec, s[20:21]                                   // 00000000ADAC: BEFE0114
	buffer_store_dword v65, v6, s[8:11], 0 offen               // 00000000ADB0: E0701000 80024106
	buffer_store_dword v67, v6, s[8:11], 0 offen offset:128    // 00000000ADB8: E0701080 80024306
	s_mov_b64 exec, s[36:37]                                   // 00000000ADC0: BEFE0124
	v_mov_b32_e32 v6, v52                                      // 00000000ADC4: 7E0C0334
	s_mov_b64 s[60:61], 0                                      // 00000000ADC8: BEBC0180
	v_readlane_b32 s82, v3, 4                                  // 00000000ADCC: D2890052 00010903
	s_and_b32 s82, s82, 0xffffff                               // 00000000ADD4: 8652FF52 00FFFFFF
	s_cmp_lt_u32 s82, s66                                      // 00000000ADDC: BF0A4252
	s_cselect_b32 s20, s36, s60                                // 00000000ADE0: 85143C24
	v_readlane_b32 s82, v3, 5                                  // 00000000ADE4: D2890052 00010B03
	s_and_b32 s82, s82, 0xffffff                               // 00000000ADEC: 8652FF52 00FFFFFF
	s_cmp_lt_u32 s82, s66                                      // 00000000ADF4: BF0A4252
	s_cselect_b32 s21, s36, s60                                // 00000000ADF8: 85153C24
	s_mov_b64 exec, s[20:21]                                   // 00000000ADFC: BEFE0114
	buffer_store_dword v68, v6, s[8:11], 0 offen               // 00000000AE00: E0701000 80024406
	buffer_store_dword v70, v6, s[8:11], 0 offen offset:128    // 00000000AE08: E0701080 80024606
	s_mov_b64 exec, s[36:37]                                   // 00000000AE10: BEFE0124
	v_mov_b32_e32 v6, v53                                      // 00000000AE14: 7E0C0335
	s_mov_b64 s[60:61], 0                                      // 00000000AE18: BEBC0180
	v_readlane_b32 s82, v3, 6                                  // 00000000AE1C: D2890052 00010D03
	s_and_b32 s82, s82, 0xffffff                               // 00000000AE24: 8652FF52 00FFFFFF
	s_cmp_lt_u32 s82, s66                                      // 00000000AE2C: BF0A4252
	s_cselect_b32 s20, s36, s60                                // 00000000AE30: 85143C24
	v_readlane_b32 s82, v3, 7                                  // 00000000AE34: D2890052 00010F03
	s_and_b32 s82, s82, 0xffffff                               // 00000000AE3C: 8652FF52 00FFFFFF
	s_cmp_lt_u32 s82, s66                                      // 00000000AE44: BF0A4252
	s_cselect_b32 s21, s36, s60                                // 00000000AE48: 85153C24
	s_mov_b64 exec, s[20:21]                                   // 00000000AE4C: BEFE0114
	buffer_store_dword v69, v6, s[8:11], 0 offen               // 00000000AE50: E0701000 80024506
	buffer_store_dword v71, v6, s[8:11], 0 offen offset:128    // 00000000AE58: E0701080 80024706
	s_mov_b64 exec, s[36:37]                                   // 00000000AE60: BEFE0124
	v_mov_b32_e32 v6, v54                                      // 00000000AE64: 7E0C0336
	s_mov_b64 s[60:61], 0                                      // 00000000AE68: BEBC0180
	v_readlane_b32 s82, v3, 8                                  // 00000000AE6C: D2890052 00011103
	s_and_b32 s82, s82, 0xffffff                               // 00000000AE74: 8652FF52 00FFFFFF
	s_cmp_lt_u32 s82, s66                                      // 00000000AE7C: BF0A4252
	s_cselect_b32 s20, s36, s60                                // 00000000AE80: 85143C24
	v_readlane_b32 s82, v3, 9                                  // 00000000AE84: D2890052 00011303
	s_and_b32 s82, s82, 0xffffff                               // 00000000AE8C: 8652FF52 00FFFFFF
	s_cmp_lt_u32 s82, s66                                      // 00000000AE94: BF0A4252
	s_cselect_b32 s21, s36, s60                                // 00000000AE98: 85153C24
	s_mov_b64 exec, s[20:21]                                   // 00000000AE9C: BEFE0114
	buffer_store_dword v72, v6, s[8:11], 0 offen               // 00000000AEA0: E0701000 80024806
	buffer_store_dword v74, v6, s[8:11], 0 offen offset:128    // 00000000AEA8: E0701080 80024A06
	s_mov_b64 exec, s[36:37]                                   // 00000000AEB0: BEFE0124
	v_mov_b32_e32 v6, v55                                      // 00000000AEB4: 7E0C0337
	s_mov_b64 s[60:61], 0                                      // 00000000AEB8: BEBC0180
	v_readlane_b32 s82, v3, 10                                 // 00000000AEBC: D2890052 00011503
	s_and_b32 s82, s82, 0xffffff                               // 00000000AEC4: 8652FF52 00FFFFFF
	s_cmp_lt_u32 s82, s66                                      // 00000000AECC: BF0A4252
	s_cselect_b32 s20, s36, s60                                // 00000000AED0: 85143C24
	v_readlane_b32 s82, v3, 11                                 // 00000000AED4: D2890052 00011703
	s_and_b32 s82, s82, 0xffffff                               // 00000000AEDC: 8652FF52 00FFFFFF
	s_cmp_lt_u32 s82, s66                                      // 00000000AEE4: BF0A4252
	s_cselect_b32 s21, s36, s60                                // 00000000AEE8: 85153C24
	s_mov_b64 exec, s[20:21]                                   // 00000000AEEC: BEFE0114
	buffer_store_dword v73, v6, s[8:11], 0 offen               // 00000000AEF0: E0701000 80024906
	buffer_store_dword v75, v6, s[8:11], 0 offen offset:128    // 00000000AEF8: E0701080 80024B06
	s_mov_b64 exec, s[36:37]                                   // 00000000AF00: BEFE0124
	v_mov_b32_e32 v6, v56                                      // 00000000AF04: 7E0C0338
	s_mov_b64 s[60:61], 0                                      // 00000000AF08: BEBC0180
	v_readlane_b32 s82, v3, 12                                 // 00000000AF0C: D2890052 00011903
	s_and_b32 s82, s82, 0xffffff                               // 00000000AF14: 8652FF52 00FFFFFF
	s_cmp_lt_u32 s82, s66                                      // 00000000AF1C: BF0A4252
	s_cselect_b32 s20, s36, s60                                // 00000000AF20: 85143C24
	v_readlane_b32 s82, v3, 13                                 // 00000000AF24: D2890052 00011B03
	s_and_b32 s82, s82, 0xffffff                               // 00000000AF2C: 8652FF52 00FFFFFF
	s_cmp_lt_u32 s82, s66                                      // 00000000AF34: BF0A4252
	s_cselect_b32 s21, s36, s60                                // 00000000AF38: 85153C24
	s_mov_b64 exec, s[20:21]                                   // 00000000AF3C: BEFE0114
	buffer_store_dword v76, v6, s[8:11], 0 offen               // 00000000AF40: E0701000 80024C06
	buffer_store_dword v78, v6, s[8:11], 0 offen offset:128    // 00000000AF48: E0701080 80024E06
	s_mov_b64 exec, s[36:37]                                   // 00000000AF50: BEFE0124
	v_mov_b32_e32 v6, v57                                      // 00000000AF54: 7E0C0339
	s_mov_b64 s[60:61], 0                                      // 00000000AF58: BEBC0180
	v_readlane_b32 s82, v3, 14                                 // 00000000AF5C: D2890052 00011D03
	s_and_b32 s82, s82, 0xffffff                               // 00000000AF64: 8652FF52 00FFFFFF
	s_cmp_lt_u32 s82, s66                                      // 00000000AF6C: BF0A4252
	s_cselect_b32 s20, s36, s60                                // 00000000AF70: 85143C24
	v_readlane_b32 s82, v3, 15                                 // 00000000AF74: D2890052 00011F03
	s_and_b32 s82, s82, 0xffffff                               // 00000000AF7C: 8652FF52 00FFFFFF
	s_cmp_lt_u32 s82, s66                                      // 00000000AF84: BF0A4252
	s_cselect_b32 s21, s36, s60                                // 00000000AF88: 85153C24
	s_mov_b64 exec, s[20:21]                                   // 00000000AF8C: BEFE0114
	buffer_store_dword v77, v6, s[8:11], 0 offen               // 00000000AF90: E0701000 80024D06
	buffer_store_dword v79, v6, s[8:11], 0 offen offset:128    // 00000000AF98: E0701080 80024F06
	s_mov_b64 exec, s[36:37]                                   // 00000000AFA0: BEFE0124
	v_mov_b32_e32 v6, v58                                      // 00000000AFA4: 7E0C033A
	s_mov_b64 s[60:61], 0                                      // 00000000AFA8: BEBC0180
	v_readlane_b32 s82, v3, 16                                 // 00000000AFAC: D2890052 00012103
	s_and_b32 s82, s82, 0xffffff                               // 00000000AFB4: 8652FF52 00FFFFFF
	s_cmp_lt_u32 s82, s66                                      // 00000000AFBC: BF0A4252
	s_cselect_b32 s20, s36, s60                                // 00000000AFC0: 85143C24
	v_readlane_b32 s82, v3, 17                                 // 00000000AFC4: D2890052 00012303
	s_and_b32 s82, s82, 0xffffff                               // 00000000AFCC: 8652FF52 00FFFFFF
	s_cmp_lt_u32 s82, s66                                      // 00000000AFD4: BF0A4252
	s_cselect_b32 s21, s36, s60                                // 00000000AFD8: 85153C24
	s_mov_b64 exec, s[20:21]                                   // 00000000AFDC: BEFE0114
	buffer_store_dword v80, v6, s[8:11], 0 offen               // 00000000AFE0: E0701000 80025006
	buffer_store_dword v82, v6, s[8:11], 0 offen offset:128    // 00000000AFE8: E0701080 80025206
	s_mov_b64 exec, s[36:37]                                   // 00000000AFF0: BEFE0124
	v_mov_b32_e32 v6, v59                                      // 00000000AFF4: 7E0C033B
	s_mov_b64 s[60:61], 0                                      // 00000000AFF8: BEBC0180
	v_readlane_b32 s82, v3, 18                                 // 00000000AFFC: D2890052 00012503
	s_and_b32 s82, s82, 0xffffff                               // 00000000B004: 8652FF52 00FFFFFF
	s_cmp_lt_u32 s82, s66                                      // 00000000B00C: BF0A4252
	s_cselect_b32 s20, s36, s60                                // 00000000B010: 85143C24
	v_readlane_b32 s82, v3, 19                                 // 00000000B014: D2890052 00012703
	s_and_b32 s82, s82, 0xffffff                               // 00000000B01C: 8652FF52 00FFFFFF
	s_cmp_lt_u32 s82, s66                                      // 00000000B024: BF0A4252
	s_cselect_b32 s21, s36, s60                                // 00000000B028: 85153C24
	s_mov_b64 exec, s[20:21]                                   // 00000000B02C: BEFE0114
	buffer_store_dword v81, v6, s[8:11], 0 offen               // 00000000B030: E0701000 80025106
	buffer_store_dword v83, v6, s[8:11], 0 offen offset:128    // 00000000B038: E0701080 80025306
	s_mov_b64 exec, s[36:37]                                   // 00000000B040: BEFE0124
	s_cmp_eq_u32 s7, 0                                         // 00000000B044: BF068007
	s_cbranch_scc0 label_4DE4                                  // 00000000B048: BF842C4E
	s_waitcnt vmcnt(20)                                        // 00000000B04C: BF8C4F74
	s_mov_b32 s8, s90                                          // 00000000B050: BE88005A
	s_mov_b32 s9, s91                                          // 00000000B054: BE89005B
	s_mul_i32 s60, s66, s71                                    // 00000000B058: 923C4742
	s_add_u32 s8, s60, s8                                      // 00000000B05C: 8008083C
	s_addc_u32 s9, 0, s9                                       // 00000000B060: 82090980
	s_lshr_b32 s71, s71, 5                                     // 00000000B064: 8F478547
	s_mul_i32 s60, s66, s71                                    // 00000000B068: 923C4742
	s_mov_b32 s10, s60                                         // 00000000B06C: BE8A003C
	s_lshr_b32 s61, s65, 5                                     // 00000000B070: 8F3D8541
	s_mul_i32 s60, s2, 8                                       // 00000000B074: 923C8802
	v_lshrrev_b32_e32 v4, 24, v30                              // 00000000B078: 20083C98
	v_mul_lo_u32 v4, s61, v4                                   // 00000000B07C: D2850004 0002083D
	v_and_b32_e32 v30, 0xffffff, v30                           // 00000000B084: 263C3CFF 00FFFFFF
	v_mul_lo_u32 v30, s71, v30                                 // 00000000B08C: D285001E 00023C47
	v_add_u32_e32 v30, v4, v30                                 // 00000000B094: 683C3D04
	v_add_u32_e32 v30, s60, v30                                // 00000000B098: 683C3C3C
	v_lshrrev_b32_e32 v4, 24, v31                              // 00000000B09C: 20083E98
	v_mul_lo_u32 v4, s61, v4                                   // 00000000B0A0: D2850004 0002083D
	v_and_b32_e32 v31, 0xffffff, v31                           // 00000000B0A8: 263E3EFF 00FFFFFF
	v_mul_lo_u32 v31, s71, v31                                 // 00000000B0B0: D285001F 00023E47
	v_add_u32_e32 v31, v4, v31                                 // 00000000B0B8: 683E3F04
	v_add_u32_e32 v31, s60, v31                                // 00000000B0BC: 683E3E3C
	v_lshrrev_b32_e32 v4, 24, v32                              // 00000000B0C0: 20084098
	v_mul_lo_u32 v4, s61, v4                                   // 00000000B0C4: D2850004 0002083D
	v_and_b32_e32 v32, 0xffffff, v32                           // 00000000B0CC: 264040FF 00FFFFFF
	v_mul_lo_u32 v32, s71, v32                                 // 00000000B0D4: D2850020 00024047
	v_add_u32_e32 v32, v4, v32                                 // 00000000B0DC: 68404104
	v_add_u32_e32 v32, s60, v32                                // 00000000B0E0: 6840403C
	v_lshrrev_b32_e32 v4, 24, v33                              // 00000000B0E4: 20084298
	v_mul_lo_u32 v4, s61, v4                                   // 00000000B0E8: D2850004 0002083D
	v_and_b32_e32 v33, 0xffffff, v33                           // 00000000B0F0: 264242FF 00FFFFFF
	v_mul_lo_u32 v33, s71, v33                                 // 00000000B0F8: D2850021 00024247
	v_add_u32_e32 v33, v4, v33                                 // 00000000B100: 68424304
	v_add_u32_e32 v33, s60, v33                                // 00000000B104: 6842423C
	v_lshrrev_b32_e32 v4, 24, v34                              // 00000000B108: 20084498
	v_mul_lo_u32 v4, s61, v4                                   // 00000000B10C: D2850004 0002083D
	v_and_b32_e32 v34, 0xffffff, v34                           // 00000000B114: 264444FF 00FFFFFF
	v_mul_lo_u32 v34, s71, v34                                 // 00000000B11C: D2850022 00024447
	v_add_u32_e32 v34, v4, v34                                 // 00000000B124: 68444504
	v_add_u32_e32 v34, s60, v34                                // 00000000B128: 6844443C
	s_mov_b64 exec, 0xffff                                     // 00000000B12C: BEFE01FF 0000FFFF
	buffer_store_dword v144, v30, s[8:11], 0 offen             // 00000000B134: E0701000 8002901E
	buffer_store_dword v149, v30, s[8:11], 0 offen offset:4    // 00000000B13C: E0701004 8002951E
	buffer_store_dword v145, v31, s[8:11], 0 offen             // 00000000B144: E0701000 8002911F
	buffer_store_dword v150, v31, s[8:11], 0 offen offset:4    // 00000000B14C: E0701004 8002961F
	buffer_store_dword v146, v32, s[8:11], 0 offen             // 00000000B154: E0701000 80029220
	buffer_store_dword v151, v32, s[8:11], 0 offen offset:4    // 00000000B15C: E0701004 80029720
	buffer_store_dword v147, v33, s[8:11], 0 offen             // 00000000B164: E0701000 80029321
	buffer_store_dword v152, v33, s[8:11], 0 offen offset:4    // 00000000B16C: E0701004 80029821
	buffer_store_dword v148, v34, s[8:11], 0 offen             // 00000000B174: E0701000 80029422
	buffer_store_dword v153, v34, s[8:11], 0 offen offset:4    // 00000000B17C: E0701004 80029922
	s_mov_b64 exec, s[36:37]                                   // 00000000B184: BEFE0124
	s_branch label_4DE4                                        // 00000000B188: BF822BFE

000000000000b18c <label_21E3>:
	ds_write_b64 v20, v[64:65]                                 // 00000000B18C: D89A0000 00004014
	ds_write_b64 v20, v[68:69] offset:8704                     // 00000000B194: D89A2200 00004414
	ds_write_b64 v20, v[72:73] offset:17408                    // 00000000B19C: D89A4400 00004814
	ds_write_b64 v20, v[76:77] offset:26112                    // 00000000B1A4: D89A6600 00004C14
	ds_write_b64 v20, v[80:81] offset:34816                    // 00000000B1AC: D89A8800 00005014
	ds_write_b64 v20, v[84:85] offset:2176                     // 00000000B1B4: D89A0880 00005414
	ds_write_b64 v20, v[88:89] offset:10880                    // 00000000B1BC: D89A2A80 00005814
	ds_write_b64 v20, v[92:93] offset:19584                    // 00000000B1C4: D89A4C80 00005C14
	ds_write_b64 v20, v[96:97] offset:28288                    // 00000000B1CC: D89A6E80 00006014
	ds_write_b64 v20, v[100:101] offset:36992                  // 00000000B1D4: D89A9080 00006414
	ds_write_b64 v20, v[104:105] offset:4352                   // 00000000B1DC: D89A1100 00006814
	ds_write_b64 v20, v[108:109] offset:13056                  // 00000000B1E4: D89A3300 00006C14
	ds_write_b64 v20, v[112:113] offset:21760                  // 00000000B1EC: D89A5500 00007014
	ds_write_b64 v20, v[116:117] offset:30464                  // 00000000B1F4: D89A7700 00007414
	ds_write_b64 v20, v[120:121] offset:39168                  // 00000000B1FC: D89A9900 00007814
	ds_write_b64 v20, v[124:125] offset:6528                   // 00000000B204: D89A1980 00007C14
	ds_write_b64 v20, v[128:129] offset:15232                  // 00000000B20C: D89A3B80 00008014
	ds_write_b64 v20, v[132:133] offset:23936                  // 00000000B214: D89A5D80 00008414
	ds_write_b64 v20, v[136:137] offset:32640                  // 00000000B21C: D89A7F80 00008814
	ds_write_b64 v20, v[140:141] offset:41344                  // 00000000B224: D89AA180 00008C14
	v_lshrrev_b32_e32 v4, 5, v0                                // 00000000B22C: 20080085
	v_xor_b32_e32 v5, 1, v4                                    // 00000000B230: 2A0A0881
	s_mul_i32 s60, s65, 1                                      // 00000000B234: 923C8141
	s_cmp_eq_u32 s88, 0                                        // 00000000B238: BF068058
	s_cselect_b32 s61, 1, 8                                    // 00000000B23C: 853D8881
	s_mul_i32 s60, s61, s60                                    // 00000000B240: 923C3C3D
	v_readlane_b32 s82, v3, 0                                  // 00000000B244: D2890052 00010103
	s_lshr_b32 s61, s82, 24                                    // 00000000B24C: 8F3D9852
	s_and_b32 s82, s82, 0xffffff                               // 00000000B250: 8652FF52 00FFFFFF
	s_mul_i32 s82, s82, s71                                    // 00000000B258: 92524752
	s_mul_i32 s61, s60, s61                                    // 00000000B25C: 923D3D3C
	s_add_u32 s82, s82, s61                                    // 00000000B260: 80523D52
	v_mul_lo_u32 v6, v5, s82                                   // 00000000B264: D2850006 0000A505
	v_readlane_b32 s82, v3, 1                                  // 00000000B26C: D2890052 00010303
	s_lshr_b32 s61, s82, 24                                    // 00000000B274: 8F3D9852
	s_and_b32 s82, s82, 0xffffff                               // 00000000B278: 8652FF52 00FFFFFF
	s_mul_i32 s82, s82, s71                                    // 00000000B280: 92524752
	s_mul_i32 s61, s60, s61                                    // 00000000B284: 923D3D3C
	s_add_u32 s82, s82, s61                                    // 00000000B288: 80523D52
	v_mul_lo_u32 v7, v4, s82                                   // 00000000B28C: D2850007 0000A504
	v_add_u32_e32 v50, v6, v7                                  // 00000000B294: 68640F06
	v_readlane_b32 s82, v3, 2                                  // 00000000B298: D2890052 00010503
	s_lshr_b32 s61, s82, 24                                    // 00000000B2A0: 8F3D9852
	s_and_b32 s82, s82, 0xffffff                               // 00000000B2A4: 8652FF52 00FFFFFF
	s_mul_i32 s82, s82, s71                                    // 00000000B2AC: 92524752
	s_mul_i32 s61, s60, s61                                    // 00000000B2B0: 923D3D3C
	s_add_u32 s82, s82, s61                                    // 00000000B2B4: 80523D52
	v_mul_lo_u32 v6, v5, s82                                   // 00000000B2B8: D2850006 0000A505
	v_readlane_b32 s82, v3, 3                                  // 00000000B2C0: D2890052 00010703
	s_lshr_b32 s61, s82, 24                                    // 00000000B2C8: 8F3D9852
	s_and_b32 s82, s82, 0xffffff                               // 00000000B2CC: 8652FF52 00FFFFFF
	s_mul_i32 s82, s82, s71                                    // 00000000B2D4: 92524752
	s_mul_i32 s61, s60, s61                                    // 00000000B2D8: 923D3D3C
	s_add_u32 s82, s82, s61                                    // 00000000B2DC: 80523D52
	v_mul_lo_u32 v7, v4, s82                                   // 00000000B2E0: D2850007 0000A504
	v_add_u32_e32 v51, v6, v7                                  // 00000000B2E8: 68660F06
	v_readlane_b32 s82, v3, 4                                  // 00000000B2EC: D2890052 00010903
	s_lshr_b32 s61, s82, 24                                    // 00000000B2F4: 8F3D9852
	s_and_b32 s82, s82, 0xffffff                               // 00000000B2F8: 8652FF52 00FFFFFF
	s_mul_i32 s82, s82, s71                                    // 00000000B300: 92524752
	s_mul_i32 s61, s60, s61                                    // 00000000B304: 923D3D3C
	s_add_u32 s82, s82, s61                                    // 00000000B308: 80523D52
	v_mul_lo_u32 v6, v5, s82                                   // 00000000B30C: D2850006 0000A505
	v_readlane_b32 s82, v3, 5                                  // 00000000B314: D2890052 00010B03
	s_lshr_b32 s61, s82, 24                                    // 00000000B31C: 8F3D9852
	s_and_b32 s82, s82, 0xffffff                               // 00000000B320: 8652FF52 00FFFFFF
	s_mul_i32 s82, s82, s71                                    // 00000000B328: 92524752
	s_mul_i32 s61, s60, s61                                    // 00000000B32C: 923D3D3C
	s_add_u32 s82, s82, s61                                    // 00000000B330: 80523D52
	v_mul_lo_u32 v7, v4, s82                                   // 00000000B334: D2850007 0000A504
	v_add_u32_e32 v52, v6, v7                                  // 00000000B33C: 68680F06
	v_readlane_b32 s82, v3, 6                                  // 00000000B340: D2890052 00010D03
	s_lshr_b32 s61, s82, 24                                    // 00000000B348: 8F3D9852
	s_and_b32 s82, s82, 0xffffff                               // 00000000B34C: 8652FF52 00FFFFFF
	s_mul_i32 s82, s82, s71                                    // 00000000B354: 92524752
	s_mul_i32 s61, s60, s61                                    // 00000000B358: 923D3D3C
	s_add_u32 s82, s82, s61                                    // 00000000B35C: 80523D52
	v_mul_lo_u32 v6, v5, s82                                   // 00000000B360: D2850006 0000A505
	v_readlane_b32 s82, v3, 7                                  // 00000000B368: D2890052 00010F03
	s_lshr_b32 s61, s82, 24                                    // 00000000B370: 8F3D9852
	s_and_b32 s82, s82, 0xffffff                               // 00000000B374: 8652FF52 00FFFFFF
	s_mul_i32 s82, s82, s71                                    // 00000000B37C: 92524752
	s_mul_i32 s61, s60, s61                                    // 00000000B380: 923D3D3C
	s_add_u32 s82, s82, s61                                    // 00000000B384: 80523D52
	v_mul_lo_u32 v7, v4, s82                                   // 00000000B388: D2850007 0000A504
	v_add_u32_e32 v53, v6, v7                                  // 00000000B390: 686A0F06
	v_readlane_b32 s82, v3, 8                                  // 00000000B394: D2890052 00011103
	s_lshr_b32 s61, s82, 24                                    // 00000000B39C: 8F3D9852
	s_and_b32 s82, s82, 0xffffff                               // 00000000B3A0: 8652FF52 00FFFFFF
	s_mul_i32 s82, s82, s71                                    // 00000000B3A8: 92524752
	s_mul_i32 s61, s60, s61                                    // 00000000B3AC: 923D3D3C
	s_add_u32 s82, s82, s61                                    // 00000000B3B0: 80523D52
	v_mul_lo_u32 v6, v5, s82                                   // 00000000B3B4: D2850006 0000A505
	v_readlane_b32 s82, v3, 9                                  // 00000000B3BC: D2890052 00011303
	s_lshr_b32 s61, s82, 24                                    // 00000000B3C4: 8F3D9852
	s_and_b32 s82, s82, 0xffffff                               // 00000000B3C8: 8652FF52 00FFFFFF
	s_mul_i32 s82, s82, s71                                    // 00000000B3D0: 92524752
	s_mul_i32 s61, s60, s61                                    // 00000000B3D4: 923D3D3C
	s_add_u32 s82, s82, s61                                    // 00000000B3D8: 80523D52
	v_mul_lo_u32 v7, v4, s82                                   // 00000000B3DC: D2850007 0000A504
	v_add_u32_e32 v54, v6, v7                                  // 00000000B3E4: 686C0F06
	v_readlane_b32 s82, v3, 10                                 // 00000000B3E8: D2890052 00011503
	s_lshr_b32 s61, s82, 24                                    // 00000000B3F0: 8F3D9852
	s_and_b32 s82, s82, 0xffffff                               // 00000000B3F4: 8652FF52 00FFFFFF
	s_mul_i32 s82, s82, s71                                    // 00000000B3FC: 92524752
	s_mul_i32 s61, s60, s61                                    // 00000000B400: 923D3D3C
	s_add_u32 s82, s82, s61                                    // 00000000B404: 80523D52
	v_mul_lo_u32 v6, v5, s82                                   // 00000000B408: D2850006 0000A505
	v_readlane_b32 s82, v3, 11                                 // 00000000B410: D2890052 00011703
	s_lshr_b32 s61, s82, 24                                    // 00000000B418: 8F3D9852
	s_and_b32 s82, s82, 0xffffff                               // 00000000B41C: 8652FF52 00FFFFFF
	s_mul_i32 s82, s82, s71                                    // 00000000B424: 92524752
	s_mul_i32 s61, s60, s61                                    // 00000000B428: 923D3D3C
	s_add_u32 s82, s82, s61                                    // 00000000B42C: 80523D52
	v_mul_lo_u32 v7, v4, s82                                   // 00000000B430: D2850007 0000A504
	v_add_u32_e32 v55, v6, v7                                  // 00000000B438: 686E0F06
	v_readlane_b32 s82, v3, 12                                 // 00000000B43C: D2890052 00011903
	s_lshr_b32 s61, s82, 24                                    // 00000000B444: 8F3D9852
	s_and_b32 s82, s82, 0xffffff                               // 00000000B448: 8652FF52 00FFFFFF
	s_mul_i32 s82, s82, s71                                    // 00000000B450: 92524752
	s_mul_i32 s61, s60, s61                                    // 00000000B454: 923D3D3C
	s_add_u32 s82, s82, s61                                    // 00000000B458: 80523D52
	v_mul_lo_u32 v6, v5, s82                                   // 00000000B45C: D2850006 0000A505
	v_readlane_b32 s82, v3, 13                                 // 00000000B464: D2890052 00011B03
	s_lshr_b32 s61, s82, 24                                    // 00000000B46C: 8F3D9852
	s_and_b32 s82, s82, 0xffffff                               // 00000000B470: 8652FF52 00FFFFFF
	s_mul_i32 s82, s82, s71                                    // 00000000B478: 92524752
	s_mul_i32 s61, s60, s61                                    // 00000000B47C: 923D3D3C
	s_add_u32 s82, s82, s61                                    // 00000000B480: 80523D52
	v_mul_lo_u32 v7, v4, s82                                   // 00000000B484: D2850007 0000A504
	v_add_u32_e32 v56, v6, v7                                  // 00000000B48C: 68700F06
	v_readlane_b32 s82, v3, 14                                 // 00000000B490: D2890052 00011D03
	s_lshr_b32 s61, s82, 24                                    // 00000000B498: 8F3D9852
	s_and_b32 s82, s82, 0xffffff                               // 00000000B49C: 8652FF52 00FFFFFF
	s_mul_i32 s82, s82, s71                                    // 00000000B4A4: 92524752
	s_mul_i32 s61, s60, s61                                    // 00000000B4A8: 923D3D3C
	s_add_u32 s82, s82, s61                                    // 00000000B4AC: 80523D52
	v_mul_lo_u32 v6, v5, s82                                   // 00000000B4B0: D2850006 0000A505
	v_readlane_b32 s82, v3, 15                                 // 00000000B4B8: D2890052 00011F03
	s_lshr_b32 s61, s82, 24                                    // 00000000B4C0: 8F3D9852
	s_and_b32 s82, s82, 0xffffff                               // 00000000B4C4: 8652FF52 00FFFFFF
	s_mul_i32 s82, s82, s71                                    // 00000000B4CC: 92524752
	s_mul_i32 s61, s60, s61                                    // 00000000B4D0: 923D3D3C
	s_add_u32 s82, s82, s61                                    // 00000000B4D4: 80523D52
	v_mul_lo_u32 v7, v4, s82                                   // 00000000B4D8: D2850007 0000A504
	v_add_u32_e32 v57, v6, v7                                  // 00000000B4E0: 68720F06
	v_readlane_b32 s82, v3, 16                                 // 00000000B4E4: D2890052 00012103
	s_lshr_b32 s61, s82, 24                                    // 00000000B4EC: 8F3D9852
	s_and_b32 s82, s82, 0xffffff                               // 00000000B4F0: 8652FF52 00FFFFFF
	s_mul_i32 s82, s82, s71                                    // 00000000B4F8: 92524752
	s_mul_i32 s61, s60, s61                                    // 00000000B4FC: 923D3D3C
	s_add_u32 s82, s82, s61                                    // 00000000B500: 80523D52
	v_mul_lo_u32 v6, v5, s82                                   // 00000000B504: D2850006 0000A505
	v_readlane_b32 s82, v3, 17                                 // 00000000B50C: D2890052 00012303
	s_lshr_b32 s61, s82, 24                                    // 00000000B514: 8F3D9852
	s_and_b32 s82, s82, 0xffffff                               // 00000000B518: 8652FF52 00FFFFFF
	s_mul_i32 s82, s82, s71                                    // 00000000B520: 92524752
	s_mul_i32 s61, s60, s61                                    // 00000000B524: 923D3D3C
	s_add_u32 s82, s82, s61                                    // 00000000B528: 80523D52
	v_mul_lo_u32 v7, v4, s82                                   // 00000000B52C: D2850007 0000A504
	v_add_u32_e32 v58, v6, v7                                  // 00000000B534: 68740F06
	v_readlane_b32 s82, v3, 18                                 // 00000000B538: D2890052 00012503
	s_lshr_b32 s61, s82, 24                                    // 00000000B540: 8F3D9852
	s_and_b32 s82, s82, 0xffffff                               // 00000000B544: 8652FF52 00FFFFFF
	s_mul_i32 s82, s82, s71                                    // 00000000B54C: 92524752
	s_mul_i32 s61, s60, s61                                    // 00000000B550: 923D3D3C
	s_add_u32 s82, s82, s61                                    // 00000000B554: 80523D52
	v_mul_lo_u32 v6, v5, s82                                   // 00000000B558: D2850006 0000A505
	v_readlane_b32 s82, v3, 19                                 // 00000000B560: D2890052 00012703
	s_lshr_b32 s61, s82, 24                                    // 00000000B568: 8F3D9852
	s_and_b32 s82, s82, 0xffffff                               // 00000000B56C: 8652FF52 00FFFFFF
	s_mul_i32 s82, s82, s71                                    // 00000000B574: 92524752
	s_mul_i32 s61, s60, s61                                    // 00000000B578: 923D3D3C
	s_add_u32 s82, s82, s61                                    // 00000000B57C: 80523D52
	v_mul_lo_u32 v7, v4, s82                                   // 00000000B580: D2850007 0000A504
	v_add_u32_e32 v59, v6, v7                                  // 00000000B588: 68760F06
	v_and_b32_e32 v4, 31, v0                                   // 00000000B58C: 2608009F
	v_lshrrev_b32_e32 v4, 1, v4                                // 00000000B590: 20080881
	s_cmp_eq_u32 s88, 0                                        // 00000000B594: BF068058
	s_cselect_b32 s61, 2, 4                                    // 00000000B598: 853D8482
	v_mul_lo_u32 v4, v4, s61                                   // 00000000B59C: D2850004 00007B04
	v_and_b32_e64 v5, v0, 1                                    // 00000000B5A4: D1130005 00010300
	v_add_u32_e32 v4, v4, v5                                   // 00000000B5AC: 68080B04
	v_lshlrev_b32_e32 v4, 2, v4                                // 00000000B5B0: 24080882
	v_add_u32_e32 v50, v50, v4                                 // 00000000B5B4: 68640932
	v_add_u32_e32 v51, v51, v4                                 // 00000000B5B8: 68660933
	v_add_u32_e32 v52, v52, v4                                 // 00000000B5BC: 68680934
	v_add_u32_e32 v53, v53, v4                                 // 00000000B5C0: 686A0935
	v_add_u32_e32 v54, v54, v4                                 // 00000000B5C4: 686C0936
	v_add_u32_e32 v55, v55, v4                                 // 00000000B5C8: 686E0937
	v_add_u32_e32 v56, v56, v4                                 // 00000000B5CC: 68700938
	v_add_u32_e32 v57, v57, v4                                 // 00000000B5D0: 68720939
	v_add_u32_e32 v58, v58, v4                                 // 00000000B5D4: 6874093A
	v_add_u32_e32 v59, v59, v4                                 // 00000000B5D8: 6876093B
	s_waitcnt lgkmcnt(0)                                       // 00000000B5DC: BF8CC07F
	s_barrier                                                  // 00000000B5E0: BF8A0000
	ds_read_b32 v64, v21                                       // 00000000B5E4: D86C0000 40000015
	ds_read_b32 v65, v21 offset:64                             // 00000000B5EC: D86C0040 41000015
	ds_read_b32 v68, v21 offset:2176                           // 00000000B5F4: D86C0880 44000015
	ds_read_b32 v69, v21 offset:2240                           // 00000000B5FC: D86C08C0 45000015
	ds_read_b32 v72, v21 offset:4352                           // 00000000B604: D86C1100 48000015
	ds_read_b32 v73, v21 offset:4416                           // 00000000B60C: D86C1140 49000015
	ds_read_b32 v76, v21 offset:6528                           // 00000000B614: D86C1980 4C000015
	ds_read_b32 v77, v21 offset:6592                           // 00000000B61C: D86C19C0 4D000015
	ds_read_b32 v80, v21 offset:8704                           // 00000000B624: D86C2200 50000015
	ds_read_b32 v81, v21 offset:8768                           // 00000000B62C: D86C2240 51000015
	ds_read_b32 v84, v21 offset:10880                          // 00000000B634: D86C2A80 54000015
	ds_read_b32 v85, v21 offset:10944                          // 00000000B63C: D86C2AC0 55000015
	ds_read_b32 v88, v21 offset:13056                          // 00000000B644: D86C3300 58000015
	ds_read_b32 v89, v21 offset:13120                          // 00000000B64C: D86C3340 59000015
	ds_read_b32 v92, v21 offset:15232                          // 00000000B654: D86C3B80 5C000015
	ds_read_b32 v93, v21 offset:15296                          // 00000000B65C: D86C3BC0 5D000015
	ds_read_b32 v96, v21 offset:17408                          // 00000000B664: D86C4400 60000015
	ds_read_b32 v97, v21 offset:17472                          // 00000000B66C: D86C4440 61000015
	ds_read_b32 v100, v21 offset:19584                         // 00000000B674: D86C4C80 64000015
	ds_read_b32 v101, v21 offset:19648                         // 00000000B67C: D86C4CC0 65000015
	ds_read_b32 v104, v21 offset:21760                         // 00000000B684: D86C5500 68000015
	ds_read_b32 v105, v21 offset:21824                         // 00000000B68C: D86C5540 69000015
	ds_read_b32 v108, v21 offset:23936                         // 00000000B694: D86C5D80 6C000015
	ds_read_b32 v109, v21 offset:24000                         // 00000000B69C: D86C5DC0 6D000015
	ds_read_b32 v112, v21 offset:26112                         // 00000000B6A4: D86C6600 70000015
	ds_read_b32 v113, v21 offset:26176                         // 00000000B6AC: D86C6640 71000015
	ds_read_b32 v116, v21 offset:28288                         // 00000000B6B4: D86C6E80 74000015
	ds_read_b32 v117, v21 offset:28352                         // 00000000B6BC: D86C6EC0 75000015
	ds_read_b32 v120, v21 offset:30464                         // 00000000B6C4: D86C7700 78000015
	ds_read_b32 v121, v21 offset:30528                         // 00000000B6CC: D86C7740 79000015
	ds_read_b32 v124, v21 offset:32640                         // 00000000B6D4: D86C7F80 7C000015
	ds_read_b32 v125, v21 offset:32704                         // 00000000B6DC: D86C7FC0 7D000015
	ds_read_b32 v128, v21 offset:34816                         // 00000000B6E4: D86C8800 80000015
	ds_read_b32 v129, v21 offset:34880                         // 00000000B6EC: D86C8840 81000015
	ds_read_b32 v132, v21 offset:36992                         // 00000000B6F4: D86C9080 84000015
	ds_read_b32 v133, v21 offset:37056                         // 00000000B6FC: D86C90C0 85000015
	ds_read_b32 v136, v21 offset:39168                         // 00000000B704: D86C9900 88000015
	ds_read_b32 v137, v21 offset:39232                         // 00000000B70C: D86C9940 89000015
	ds_read_b32 v140, v21 offset:41344                         // 00000000B714: D86CA180 8C000015
	ds_read_b32 v141, v21 offset:41408                         // 00000000B71C: D86CA1C0 8D000015
	s_waitcnt lgkmcnt(0)                                       // 00000000B724: BF8CC07F
	s_mov_b32 s36, -1                                          // 00000000B728: BEA400C1
	s_mov_b32 s37, -1                                          // 00000000B72C: BEA500C1
	v_mov_b32_e32 v7, 0                                        // 00000000B730: 7E0E0280
	s_mov_b64 exec, s[36:37]                                   // 00000000B734: BEFE0124
	v_mov_b32_e32 v6, v50                                      // 00000000B738: 7E0C0332
	s_mov_b64 s[60:61], 0                                      // 00000000B73C: BEBC0180
	v_readlane_b32 s82, v3, 0                                  // 00000000B740: D2890052 00010103
	s_and_b32 s82, s82, 0xffffff                               // 00000000B748: 8652FF52 00FFFFFF
	s_cmp_lt_u32 s82, s66                                      // 00000000B750: BF0A4252
	s_cselect_b32 s20, s36, s60                                // 00000000B754: 85143C24
	v_readlane_b32 s82, v3, 1                                  // 00000000B758: D2890052 00010303
	s_and_b32 s82, s82, 0xffffff                               // 00000000B760: 8652FF52 00FFFFFF
	s_cmp_lt_u32 s82, s66                                      // 00000000B768: BF0A4252
	s_cselect_b32 s21, s36, s60                                // 00000000B76C: 85153C24
	s_mov_b64 exec, s[20:21]                                   // 00000000B770: BEFE0114
	global_atomic_add_f32 v6, v64, s[8:9]                      // 00000000B774: DD348000 00084006
	global_atomic_add_f32 v6, v68, s[8:9] offset:256           // 00000000B77C: DD348100 00084406
	global_atomic_add_f32 v6, v72, s[8:9] offset:512           // 00000000B784: DD348200 00084806
	global_atomic_add_f32 v6, v76, s[8:9] offset:768           // 00000000B78C: DD348300 00084C06
	s_mov_b64 exec, s[36:37]                                   // 00000000B794: BEFE0124
	v_mov_b32_e32 v6, v51                                      // 00000000B798: 7E0C0333
	s_mov_b64 s[60:61], 0                                      // 00000000B79C: BEBC0180
	v_readlane_b32 s82, v3, 2                                  // 00000000B7A0: D2890052 00010503
	s_and_b32 s82, s82, 0xffffff                               // 00000000B7A8: 8652FF52 00FFFFFF
	s_cmp_lt_u32 s82, s66                                      // 00000000B7B0: BF0A4252
	s_cselect_b32 s20, s36, s60                                // 00000000B7B4: 85143C24
	v_readlane_b32 s82, v3, 3                                  // 00000000B7B8: D2890052 00010703
	s_and_b32 s82, s82, 0xffffff                               // 00000000B7C0: 8652FF52 00FFFFFF
	s_cmp_lt_u32 s82, s66                                      // 00000000B7C8: BF0A4252
	s_cselect_b32 s21, s36, s60                                // 00000000B7CC: 85153C24
	s_mov_b64 exec, s[20:21]                                   // 00000000B7D0: BEFE0114
	global_atomic_add_f32 v6, v65, s[8:9]                      // 00000000B7D4: DD348000 00084106
	global_atomic_add_f32 v6, v69, s[8:9] offset:256           // 00000000B7DC: DD348100 00084506
	global_atomic_add_f32 v6, v73, s[8:9] offset:512           // 00000000B7E4: DD348200 00084906
	global_atomic_add_f32 v6, v77, s[8:9] offset:768           // 00000000B7EC: DD348300 00084D06
	s_mov_b64 exec, s[36:37]                                   // 00000000B7F4: BEFE0124
	v_mov_b32_e32 v6, v52                                      // 00000000B7F8: 7E0C0334
	s_mov_b64 s[60:61], 0                                      // 00000000B7FC: BEBC0180
	v_readlane_b32 s82, v3, 4                                  // 00000000B800: D2890052 00010903
	s_and_b32 s82, s82, 0xffffff                               // 00000000B808: 8652FF52 00FFFFFF
	s_cmp_lt_u32 s82, s66                                      // 00000000B810: BF0A4252
	s_cselect_b32 s20, s36, s60                                // 00000000B814: 85143C24
	v_readlane_b32 s82, v3, 5                                  // 00000000B818: D2890052 00010B03
	s_and_b32 s82, s82, 0xffffff                               // 00000000B820: 8652FF52 00FFFFFF
	s_cmp_lt_u32 s82, s66                                      // 00000000B828: BF0A4252
	s_cselect_b32 s21, s36, s60                                // 00000000B82C: 85153C24
	s_mov_b64 exec, s[20:21]                                   // 00000000B830: BEFE0114
	global_atomic_add_f32 v6, v80, s[8:9]                      // 00000000B834: DD348000 00085006
	global_atomic_add_f32 v6, v84, s[8:9] offset:256           // 00000000B83C: DD348100 00085406
	global_atomic_add_f32 v6, v88, s[8:9] offset:512           // 00000000B844: DD348200 00085806
	global_atomic_add_f32 v6, v92, s[8:9] offset:768           // 00000000B84C: DD348300 00085C06
	s_mov_b64 exec, s[36:37]                                   // 00000000B854: BEFE0124
	v_mov_b32_e32 v6, v53                                      // 00000000B858: 7E0C0335
	s_mov_b64 s[60:61], 0                                      // 00000000B85C: BEBC0180
	v_readlane_b32 s82, v3, 6                                  // 00000000B860: D2890052 00010D03
	s_and_b32 s82, s82, 0xffffff                               // 00000000B868: 8652FF52 00FFFFFF
	s_cmp_lt_u32 s82, s66                                      // 00000000B870: BF0A4252
	s_cselect_b32 s20, s36, s60                                // 00000000B874: 85143C24
	v_readlane_b32 s82, v3, 7                                  // 00000000B878: D2890052 00010F03
	s_and_b32 s82, s82, 0xffffff                               // 00000000B880: 8652FF52 00FFFFFF
	s_cmp_lt_u32 s82, s66                                      // 00000000B888: BF0A4252
	s_cselect_b32 s21, s36, s60                                // 00000000B88C: 85153C24
	s_mov_b64 exec, s[20:21]                                   // 00000000B890: BEFE0114
	global_atomic_add_f32 v6, v81, s[8:9]                      // 00000000B894: DD348000 00085106
	global_atomic_add_f32 v6, v85, s[8:9] offset:256           // 00000000B89C: DD348100 00085506
	global_atomic_add_f32 v6, v89, s[8:9] offset:512           // 00000000B8A4: DD348200 00085906
	global_atomic_add_f32 v6, v93, s[8:9] offset:768           // 00000000B8AC: DD348300 00085D06
	s_mov_b64 exec, s[36:37]                                   // 00000000B8B4: BEFE0124
	v_mov_b32_e32 v6, v54                                      // 00000000B8B8: 7E0C0336
	s_mov_b64 s[60:61], 0                                      // 00000000B8BC: BEBC0180
	v_readlane_b32 s82, v3, 8                                  // 00000000B8C0: D2890052 00011103
	s_and_b32 s82, s82, 0xffffff                               // 00000000B8C8: 8652FF52 00FFFFFF
	s_cmp_lt_u32 s82, s66                                      // 00000000B8D0: BF0A4252
	s_cselect_b32 s20, s36, s60                                // 00000000B8D4: 85143C24
	v_readlane_b32 s82, v3, 9                                  // 00000000B8D8: D2890052 00011303
	s_and_b32 s82, s82, 0xffffff                               // 00000000B8E0: 8652FF52 00FFFFFF
	s_cmp_lt_u32 s82, s66                                      // 00000000B8E8: BF0A4252
	s_cselect_b32 s21, s36, s60                                // 00000000B8EC: 85153C24
	s_mov_b64 exec, s[20:21]                                   // 00000000B8F0: BEFE0114
	global_atomic_add_f32 v6, v96, s[8:9]                      // 00000000B8F4: DD348000 00086006
	global_atomic_add_f32 v6, v100, s[8:9] offset:256          // 00000000B8FC: DD348100 00086406
	global_atomic_add_f32 v6, v104, s[8:9] offset:512          // 00000000B904: DD348200 00086806
	global_atomic_add_f32 v6, v108, s[8:9] offset:768          // 00000000B90C: DD348300 00086C06
	s_mov_b64 exec, s[36:37]                                   // 00000000B914: BEFE0124
	v_mov_b32_e32 v6, v55                                      // 00000000B918: 7E0C0337
	s_mov_b64 s[60:61], 0                                      // 00000000B91C: BEBC0180
	v_readlane_b32 s82, v3, 10                                 // 00000000B920: D2890052 00011503
	s_and_b32 s82, s82, 0xffffff                               // 00000000B928: 8652FF52 00FFFFFF
	s_cmp_lt_u32 s82, s66                                      // 00000000B930: BF0A4252
	s_cselect_b32 s20, s36, s60                                // 00000000B934: 85143C24
	v_readlane_b32 s82, v3, 11                                 // 00000000B938: D2890052 00011703
	s_and_b32 s82, s82, 0xffffff                               // 00000000B940: 8652FF52 00FFFFFF
	s_cmp_lt_u32 s82, s66                                      // 00000000B948: BF0A4252
	s_cselect_b32 s21, s36, s60                                // 00000000B94C: 85153C24
	s_mov_b64 exec, s[20:21]                                   // 00000000B950: BEFE0114
	global_atomic_add_f32 v6, v97, s[8:9]                      // 00000000B954: DD348000 00086106
	global_atomic_add_f32 v6, v101, s[8:9] offset:256          // 00000000B95C: DD348100 00086506
	global_atomic_add_f32 v6, v105, s[8:9] offset:512          // 00000000B964: DD348200 00086906
	global_atomic_add_f32 v6, v109, s[8:9] offset:768          // 00000000B96C: DD348300 00086D06
	s_mov_b64 exec, s[36:37]                                   // 00000000B974: BEFE0124
	v_mov_b32_e32 v6, v56                                      // 00000000B978: 7E0C0338
	s_mov_b64 s[60:61], 0                                      // 00000000B97C: BEBC0180
	v_readlane_b32 s82, v3, 12                                 // 00000000B980: D2890052 00011903
	s_and_b32 s82, s82, 0xffffff                               // 00000000B988: 8652FF52 00FFFFFF
	s_cmp_lt_u32 s82, s66                                      // 00000000B990: BF0A4252
	s_cselect_b32 s20, s36, s60                                // 00000000B994: 85143C24
	v_readlane_b32 s82, v3, 13                                 // 00000000B998: D2890052 00011B03
	s_and_b32 s82, s82, 0xffffff                               // 00000000B9A0: 8652FF52 00FFFFFF
	s_cmp_lt_u32 s82, s66                                      // 00000000B9A8: BF0A4252
	s_cselect_b32 s21, s36, s60                                // 00000000B9AC: 85153C24
	s_mov_b64 exec, s[20:21]                                   // 00000000B9B0: BEFE0114
	global_atomic_add_f32 v6, v112, s[8:9]                     // 00000000B9B4: DD348000 00087006
	global_atomic_add_f32 v6, v116, s[8:9] offset:256          // 00000000B9BC: DD348100 00087406
	global_atomic_add_f32 v6, v120, s[8:9] offset:512          // 00000000B9C4: DD348200 00087806
	global_atomic_add_f32 v6, v124, s[8:9] offset:768          // 00000000B9CC: DD348300 00087C06
	s_mov_b64 exec, s[36:37]                                   // 00000000B9D4: BEFE0124
	v_mov_b32_e32 v6, v57                                      // 00000000B9D8: 7E0C0339
	s_mov_b64 s[60:61], 0                                      // 00000000B9DC: BEBC0180
	v_readlane_b32 s82, v3, 14                                 // 00000000B9E0: D2890052 00011D03
	s_and_b32 s82, s82, 0xffffff                               // 00000000B9E8: 8652FF52 00FFFFFF
	s_cmp_lt_u32 s82, s66                                      // 00000000B9F0: BF0A4252
	s_cselect_b32 s20, s36, s60                                // 00000000B9F4: 85143C24
	v_readlane_b32 s82, v3, 15                                 // 00000000B9F8: D2890052 00011F03
	s_and_b32 s82, s82, 0xffffff                               // 00000000BA00: 8652FF52 00FFFFFF
	s_cmp_lt_u32 s82, s66                                      // 00000000BA08: BF0A4252
	s_cselect_b32 s21, s36, s60                                // 00000000BA0C: 85153C24
	s_mov_b64 exec, s[20:21]                                   // 00000000BA10: BEFE0114
	global_atomic_add_f32 v6, v113, s[8:9]                     // 00000000BA14: DD348000 00087106
	global_atomic_add_f32 v6, v117, s[8:9] offset:256          // 00000000BA1C: DD348100 00087506
	global_atomic_add_f32 v6, v121, s[8:9] offset:512          // 00000000BA24: DD348200 00087906
	global_atomic_add_f32 v6, v125, s[8:9] offset:768          // 00000000BA2C: DD348300 00087D06
	s_mov_b64 exec, s[36:37]                                   // 00000000BA34: BEFE0124
	v_mov_b32_e32 v6, v58                                      // 00000000BA38: 7E0C033A
	s_mov_b64 s[60:61], 0                                      // 00000000BA3C: BEBC0180
	v_readlane_b32 s82, v3, 16                                 // 00000000BA40: D2890052 00012103
	s_and_b32 s82, s82, 0xffffff                               // 00000000BA48: 8652FF52 00FFFFFF
	s_cmp_lt_u32 s82, s66                                      // 00000000BA50: BF0A4252
	s_cselect_b32 s20, s36, s60                                // 00000000BA54: 85143C24
	v_readlane_b32 s82, v3, 17                                 // 00000000BA58: D2890052 00012303
	s_and_b32 s82, s82, 0xffffff                               // 00000000BA60: 8652FF52 00FFFFFF
	s_cmp_lt_u32 s82, s66                                      // 00000000BA68: BF0A4252
	s_cselect_b32 s21, s36, s60                                // 00000000BA6C: 85153C24
	s_mov_b64 exec, s[20:21]                                   // 00000000BA70: BEFE0114
	global_atomic_add_f32 v6, v128, s[8:9]                     // 00000000BA74: DD348000 00088006
	global_atomic_add_f32 v6, v132, s[8:9] offset:256          // 00000000BA7C: DD348100 00088406
	global_atomic_add_f32 v6, v136, s[8:9] offset:512          // 00000000BA84: DD348200 00088806
	global_atomic_add_f32 v6, v140, s[8:9] offset:768          // 00000000BA8C: DD348300 00088C06
	s_mov_b64 exec, s[36:37]                                   // 00000000BA94: BEFE0124
	v_mov_b32_e32 v6, v59                                      // 00000000BA98: 7E0C033B
	s_mov_b64 s[60:61], 0                                      // 00000000BA9C: BEBC0180
	v_readlane_b32 s82, v3, 18                                 // 00000000BAA0: D2890052 00012503
	s_and_b32 s82, s82, 0xffffff                               // 00000000BAA8: 8652FF52 00FFFFFF
	s_cmp_lt_u32 s82, s66                                      // 00000000BAB0: BF0A4252
	s_cselect_b32 s20, s36, s60                                // 00000000BAB4: 85143C24
	v_readlane_b32 s82, v3, 19                                 // 00000000BAB8: D2890052 00012703
	s_and_b32 s82, s82, 0xffffff                               // 00000000BAC0: 8652FF52 00FFFFFF
	s_cmp_lt_u32 s82, s66                                      // 00000000BAC8: BF0A4252
	s_cselect_b32 s21, s36, s60                                // 00000000BACC: 85153C24
	s_mov_b64 exec, s[20:21]                                   // 00000000BAD0: BEFE0114
	global_atomic_add_f32 v6, v129, s[8:9]                     // 00000000BAD4: DD348000 00088106
	global_atomic_add_f32 v6, v133, s[8:9] offset:256          // 00000000BADC: DD348100 00088506
	global_atomic_add_f32 v6, v137, s[8:9] offset:512          // 00000000BAE4: DD348200 00088906
	global_atomic_add_f32 v6, v141, s[8:9] offset:768          // 00000000BAEC: DD348300 00088D06
	s_mov_b64 exec, s[36:37]                                   // 00000000BAF4: BEFE0124
	ds_write_b64 v20, v[66:67]                                 // 00000000BAF8: D89A0000 00004214
	ds_write_b64 v20, v[70:71] offset:8704                     // 00000000BB00: D89A2200 00004614
	ds_write_b64 v20, v[74:75] offset:17408                    // 00000000BB08: D89A4400 00004A14
	ds_write_b64 v20, v[78:79] offset:26112                    // 00000000BB10: D89A6600 00004E14
	ds_write_b64 v20, v[82:83] offset:34816                    // 00000000BB18: D89A8800 00005214
	ds_write_b64 v20, v[86:87] offset:2176                     // 00000000BB20: D89A0880 00005614
	ds_write_b64 v20, v[90:91] offset:10880                    // 00000000BB28: D89A2A80 00005A14
	ds_write_b64 v20, v[94:95] offset:19584                    // 00000000BB30: D89A4C80 00005E14
	ds_write_b64 v20, v[98:99] offset:28288                    // 00000000BB38: D89A6E80 00006214
	ds_write_b64 v20, v[102:103] offset:36992                  // 00000000BB40: D89A9080 00006614
	ds_write_b64 v20, v[106:107] offset:4352                   // 00000000BB48: D89A1100 00006A14
	ds_write_b64 v20, v[110:111] offset:13056                  // 00000000BB50: D89A3300 00006E14
	ds_write_b64 v20, v[114:115] offset:21760                  // 00000000BB58: D89A5500 00007214
	ds_write_b64 v20, v[118:119] offset:30464                  // 00000000BB60: D89A7700 00007614
	ds_write_b64 v20, v[122:123] offset:39168                  // 00000000BB68: D89A9900 00007A14
	ds_write_b64 v20, v[126:127] offset:6528                   // 00000000BB70: D89A1980 00007E14
	ds_write_b64 v20, v[130:131] offset:15232                  // 00000000BB78: D89A3B80 00008214
	ds_write_b64 v20, v[134:135] offset:23936                  // 00000000BB80: D89A5D80 00008614
	ds_write_b64 v20, v[138:139] offset:32640                  // 00000000BB88: D89A7F80 00008A14
	ds_write_b64 v20, v[142:143] offset:41344                  // 00000000BB90: D89AA180 00008E14
	s_waitcnt lgkmcnt(0)                                       // 00000000BB98: BF8CC07F
	s_barrier                                                  // 00000000BB9C: BF8A0000
	ds_read_b32 v66, v21                                       // 00000000BBA0: D86C0000 42000015
	ds_read_b32 v67, v21 offset:64                             // 00000000BBA8: D86C0040 43000015
	ds_read_b32 v70, v21 offset:2176                           // 00000000BBB0: D86C0880 46000015
	ds_read_b32 v71, v21 offset:2240                           // 00000000BBB8: D86C08C0 47000015
	ds_read_b32 v74, v21 offset:4352                           // 00000000BBC0: D86C1100 4A000015
	ds_read_b32 v75, v21 offset:4416                           // 00000000BBC8: D86C1140 4B000015
	ds_read_b32 v78, v21 offset:6528                           // 00000000BBD0: D86C1980 4E000015
	ds_read_b32 v79, v21 offset:6592                           // 00000000BBD8: D86C19C0 4F000015
	ds_read_b32 v82, v21 offset:8704                           // 00000000BBE0: D86C2200 52000015
	ds_read_b32 v83, v21 offset:8768                           // 00000000BBE8: D86C2240 53000015
	ds_read_b32 v86, v21 offset:10880                          // 00000000BBF0: D86C2A80 56000015
	ds_read_b32 v87, v21 offset:10944                          // 00000000BBF8: D86C2AC0 57000015
	ds_read_b32 v90, v21 offset:13056                          // 00000000BC00: D86C3300 5A000015
	ds_read_b32 v91, v21 offset:13120                          // 00000000BC08: D86C3340 5B000015
	ds_read_b32 v94, v21 offset:15232                          // 00000000BC10: D86C3B80 5E000015
	ds_read_b32 v95, v21 offset:15296                          // 00000000BC18: D86C3BC0 5F000015
	ds_read_b32 v98, v21 offset:17408                          // 00000000BC20: D86C4400 62000015
	ds_read_b32 v99, v21 offset:17472                          // 00000000BC28: D86C4440 63000015
	ds_read_b32 v102, v21 offset:19584                         // 00000000BC30: D86C4C80 66000015
	ds_read_b32 v103, v21 offset:19648                         // 00000000BC38: D86C4CC0 67000015
	ds_read_b32 v106, v21 offset:21760                         // 00000000BC40: D86C5500 6A000015
	ds_read_b32 v107, v21 offset:21824                         // 00000000BC48: D86C5540 6B000015
	ds_read_b32 v110, v21 offset:23936                         // 00000000BC50: D86C5D80 6E000015
	ds_read_b32 v111, v21 offset:24000                         // 00000000BC58: D86C5DC0 6F000015
	ds_read_b32 v114, v21 offset:26112                         // 00000000BC60: D86C6600 72000015
	ds_read_b32 v115, v21 offset:26176                         // 00000000BC68: D86C6640 73000015
	ds_read_b32 v118, v21 offset:28288                         // 00000000BC70: D86C6E80 76000015
	ds_read_b32 v119, v21 offset:28352                         // 00000000BC78: D86C6EC0 77000015
	ds_read_b32 v122, v21 offset:30464                         // 00000000BC80: D86C7700 7A000015
	ds_read_b32 v123, v21 offset:30528                         // 00000000BC88: D86C7740 7B000015
	ds_read_b32 v126, v21 offset:32640                         // 00000000BC90: D86C7F80 7E000015
	ds_read_b32 v127, v21 offset:32704                         // 00000000BC98: D86C7FC0 7F000015
	ds_read_b32 v130, v21 offset:34816                         // 00000000BCA0: D86C8800 82000015
	ds_read_b32 v131, v21 offset:34880                         // 00000000BCA8: D86C8840 83000015
	ds_read_b32 v134, v21 offset:36992                         // 00000000BCB0: D86C9080 86000015
	ds_read_b32 v135, v21 offset:37056                         // 00000000BCB8: D86C90C0 87000015
	ds_read_b32 v138, v21 offset:39168                         // 00000000BCC0: D86C9900 8A000015
	ds_read_b32 v139, v21 offset:39232                         // 00000000BCC8: D86C9940 8B000015
	ds_read_b32 v142, v21 offset:41344                         // 00000000BCD0: D86CA180 8E000015
	ds_read_b32 v143, v21 offset:41408                         // 00000000BCD8: D86CA1C0 8F000015
	s_waitcnt lgkmcnt(0)                                       // 00000000BCE0: BF8CC07F
	v_mov_b32_e32 v7, 0                                        // 00000000BCE4: 7E0E0280
	s_mov_b64 exec, s[36:37]                                   // 00000000BCE8: BEFE0124
	v_mov_b32_e32 v6, v50                                      // 00000000BCEC: 7E0C0332
	s_mov_b64 s[60:61], 0                                      // 00000000BCF0: BEBC0180
	v_readlane_b32 s82, v3, 0                                  // 00000000BCF4: D2890052 00010103
	s_and_b32 s82, s82, 0xffffff                               // 00000000BCFC: 8652FF52 00FFFFFF
	s_cmp_lt_u32 s82, s66                                      // 00000000BD04: BF0A4252
	s_cselect_b32 s20, s36, s60                                // 00000000BD08: 85143C24
	v_readlane_b32 s82, v3, 1                                  // 00000000BD0C: D2890052 00010303
	s_and_b32 s82, s82, 0xffffff                               // 00000000BD14: 8652FF52 00FFFFFF
	s_cmp_lt_u32 s82, s66                                      // 00000000BD1C: BF0A4252
	s_cselect_b32 s21, s36, s60                                // 00000000BD20: 85153C24
	s_mov_b64 exec, s[20:21]                                   // 00000000BD24: BEFE0114
	global_atomic_add_f32 v6, v66, s[8:9] offset:8             // 00000000BD28: DD348008 00084206
	global_atomic_add_f32 v6, v70, s[8:9] offset:264           // 00000000BD30: DD348108 00084606
	global_atomic_add_f32 v6, v74, s[8:9] offset:520           // 00000000BD38: DD348208 00084A06
	global_atomic_add_f32 v6, v78, s[8:9] offset:776           // 00000000BD40: DD348308 00084E06
	s_mov_b64 exec, s[36:37]                                   // 00000000BD48: BEFE0124
	v_mov_b32_e32 v6, v51                                      // 00000000BD4C: 7E0C0333
	s_mov_b64 s[60:61], 0                                      // 00000000BD50: BEBC0180
	v_readlane_b32 s82, v3, 2                                  // 00000000BD54: D2890052 00010503
	s_and_b32 s82, s82, 0xffffff                               // 00000000BD5C: 8652FF52 00FFFFFF
	s_cmp_lt_u32 s82, s66                                      // 00000000BD64: BF0A4252
	s_cselect_b32 s20, s36, s60                                // 00000000BD68: 85143C24
	v_readlane_b32 s82, v3, 3                                  // 00000000BD6C: D2890052 00010703
	s_and_b32 s82, s82, 0xffffff                               // 00000000BD74: 8652FF52 00FFFFFF
	s_cmp_lt_u32 s82, s66                                      // 00000000BD7C: BF0A4252
	s_cselect_b32 s21, s36, s60                                // 00000000BD80: 85153C24
	s_mov_b64 exec, s[20:21]                                   // 00000000BD84: BEFE0114
	global_atomic_add_f32 v6, v67, s[8:9] offset:8             // 00000000BD88: DD348008 00084306
	global_atomic_add_f32 v6, v71, s[8:9] offset:264           // 00000000BD90: DD348108 00084706
	global_atomic_add_f32 v6, v75, s[8:9] offset:520           // 00000000BD98: DD348208 00084B06
	global_atomic_add_f32 v6, v79, s[8:9] offset:776           // 00000000BDA0: DD348308 00084F06
	s_mov_b64 exec, s[36:37]                                   // 00000000BDA8: BEFE0124
	v_mov_b32_e32 v6, v52                                      // 00000000BDAC: 7E0C0334
	s_mov_b64 s[60:61], 0                                      // 00000000BDB0: BEBC0180
	v_readlane_b32 s82, v3, 4                                  // 00000000BDB4: D2890052 00010903
	s_and_b32 s82, s82, 0xffffff                               // 00000000BDBC: 8652FF52 00FFFFFF
	s_cmp_lt_u32 s82, s66                                      // 00000000BDC4: BF0A4252
	s_cselect_b32 s20, s36, s60                                // 00000000BDC8: 85143C24
	v_readlane_b32 s82, v3, 5                                  // 00000000BDCC: D2890052 00010B03
	s_and_b32 s82, s82, 0xffffff                               // 00000000BDD4: 8652FF52 00FFFFFF
	s_cmp_lt_u32 s82, s66                                      // 00000000BDDC: BF0A4252
	s_cselect_b32 s21, s36, s60                                // 00000000BDE0: 85153C24
	s_mov_b64 exec, s[20:21]                                   // 00000000BDE4: BEFE0114
	global_atomic_add_f32 v6, v82, s[8:9] offset:8             // 00000000BDE8: DD348008 00085206
	global_atomic_add_f32 v6, v86, s[8:9] offset:264           // 00000000BDF0: DD348108 00085606
	global_atomic_add_f32 v6, v90, s[8:9] offset:520           // 00000000BDF8: DD348208 00085A06
	global_atomic_add_f32 v6, v94, s[8:9] offset:776           // 00000000BE00: DD348308 00085E06
	s_mov_b64 exec, s[36:37]                                   // 00000000BE08: BEFE0124
	v_mov_b32_e32 v6, v53                                      // 00000000BE0C: 7E0C0335
	s_mov_b64 s[60:61], 0                                      // 00000000BE10: BEBC0180
	v_readlane_b32 s82, v3, 6                                  // 00000000BE14: D2890052 00010D03
	s_and_b32 s82, s82, 0xffffff                               // 00000000BE1C: 8652FF52 00FFFFFF
	s_cmp_lt_u32 s82, s66                                      // 00000000BE24: BF0A4252
	s_cselect_b32 s20, s36, s60                                // 00000000BE28: 85143C24
	v_readlane_b32 s82, v3, 7                                  // 00000000BE2C: D2890052 00010F03
	s_and_b32 s82, s82, 0xffffff                               // 00000000BE34: 8652FF52 00FFFFFF
	s_cmp_lt_u32 s82, s66                                      // 00000000BE3C: BF0A4252
	s_cselect_b32 s21, s36, s60                                // 00000000BE40: 85153C24
	s_mov_b64 exec, s[20:21]                                   // 00000000BE44: BEFE0114
	global_atomic_add_f32 v6, v83, s[8:9] offset:8             // 00000000BE48: DD348008 00085306
	global_atomic_add_f32 v6, v87, s[8:9] offset:264           // 00000000BE50: DD348108 00085706
	global_atomic_add_f32 v6, v91, s[8:9] offset:520           // 00000000BE58: DD348208 00085B06
	global_atomic_add_f32 v6, v95, s[8:9] offset:776           // 00000000BE60: DD348308 00085F06
	s_mov_b64 exec, s[36:37]                                   // 00000000BE68: BEFE0124
	v_mov_b32_e32 v6, v54                                      // 00000000BE6C: 7E0C0336
	s_mov_b64 s[60:61], 0                                      // 00000000BE70: BEBC0180
	v_readlane_b32 s82, v3, 8                                  // 00000000BE74: D2890052 00011103
	s_and_b32 s82, s82, 0xffffff                               // 00000000BE7C: 8652FF52 00FFFFFF
	s_cmp_lt_u32 s82, s66                                      // 00000000BE84: BF0A4252
	s_cselect_b32 s20, s36, s60                                // 00000000BE88: 85143C24
	v_readlane_b32 s82, v3, 9                                  // 00000000BE8C: D2890052 00011303
	s_and_b32 s82, s82, 0xffffff                               // 00000000BE94: 8652FF52 00FFFFFF
	s_cmp_lt_u32 s82, s66                                      // 00000000BE9C: BF0A4252
	s_cselect_b32 s21, s36, s60                                // 00000000BEA0: 85153C24
	s_mov_b64 exec, s[20:21]                                   // 00000000BEA4: BEFE0114
	global_atomic_add_f32 v6, v98, s[8:9] offset:8             // 00000000BEA8: DD348008 00086206
	global_atomic_add_f32 v6, v102, s[8:9] offset:264          // 00000000BEB0: DD348108 00086606
	global_atomic_add_f32 v6, v106, s[8:9] offset:520          // 00000000BEB8: DD348208 00086A06
	global_atomic_add_f32 v6, v110, s[8:9] offset:776          // 00000000BEC0: DD348308 00086E06
	s_mov_b64 exec, s[36:37]                                   // 00000000BEC8: BEFE0124
	v_mov_b32_e32 v6, v55                                      // 00000000BECC: 7E0C0337
	s_mov_b64 s[60:61], 0                                      // 00000000BED0: BEBC0180
	v_readlane_b32 s82, v3, 10                                 // 00000000BED4: D2890052 00011503
	s_and_b32 s82, s82, 0xffffff                               // 00000000BEDC: 8652FF52 00FFFFFF
	s_cmp_lt_u32 s82, s66                                      // 00000000BEE4: BF0A4252
	s_cselect_b32 s20, s36, s60                                // 00000000BEE8: 85143C24
	v_readlane_b32 s82, v3, 11                                 // 00000000BEEC: D2890052 00011703
	s_and_b32 s82, s82, 0xffffff                               // 00000000BEF4: 8652FF52 00FFFFFF
	s_cmp_lt_u32 s82, s66                                      // 00000000BEFC: BF0A4252
	s_cselect_b32 s21, s36, s60                                // 00000000BF00: 85153C24
	s_mov_b64 exec, s[20:21]                                   // 00000000BF04: BEFE0114
	global_atomic_add_f32 v6, v99, s[8:9] offset:8             // 00000000BF08: DD348008 00086306
	global_atomic_add_f32 v6, v103, s[8:9] offset:264          // 00000000BF10: DD348108 00086706
	global_atomic_add_f32 v6, v107, s[8:9] offset:520          // 00000000BF18: DD348208 00086B06
	global_atomic_add_f32 v6, v111, s[8:9] offset:776          // 00000000BF20: DD348308 00086F06
	s_mov_b64 exec, s[36:37]                                   // 00000000BF28: BEFE0124
	v_mov_b32_e32 v6, v56                                      // 00000000BF2C: 7E0C0338
	s_mov_b64 s[60:61], 0                                      // 00000000BF30: BEBC0180
	v_readlane_b32 s82, v3, 12                                 // 00000000BF34: D2890052 00011903
	s_and_b32 s82, s82, 0xffffff                               // 00000000BF3C: 8652FF52 00FFFFFF
	s_cmp_lt_u32 s82, s66                                      // 00000000BF44: BF0A4252
	s_cselect_b32 s20, s36, s60                                // 00000000BF48: 85143C24
	v_readlane_b32 s82, v3, 13                                 // 00000000BF4C: D2890052 00011B03
	s_and_b32 s82, s82, 0xffffff                               // 00000000BF54: 8652FF52 00FFFFFF
	s_cmp_lt_u32 s82, s66                                      // 00000000BF5C: BF0A4252
	s_cselect_b32 s21, s36, s60                                // 00000000BF60: 85153C24
	s_mov_b64 exec, s[20:21]                                   // 00000000BF64: BEFE0114
	global_atomic_add_f32 v6, v114, s[8:9] offset:8            // 00000000BF68: DD348008 00087206
	global_atomic_add_f32 v6, v118, s[8:9] offset:264          // 00000000BF70: DD348108 00087606
	global_atomic_add_f32 v6, v122, s[8:9] offset:520          // 00000000BF78: DD348208 00087A06
	global_atomic_add_f32 v6, v126, s[8:9] offset:776          // 00000000BF80: DD348308 00087E06
	s_mov_b64 exec, s[36:37]                                   // 00000000BF88: BEFE0124
	v_mov_b32_e32 v6, v57                                      // 00000000BF8C: 7E0C0339
	s_mov_b64 s[60:61], 0                                      // 00000000BF90: BEBC0180
	v_readlane_b32 s82, v3, 14                                 // 00000000BF94: D2890052 00011D03
	s_and_b32 s82, s82, 0xffffff                               // 00000000BF9C: 8652FF52 00FFFFFF
	s_cmp_lt_u32 s82, s66                                      // 00000000BFA4: BF0A4252
	s_cselect_b32 s20, s36, s60                                // 00000000BFA8: 85143C24
	v_readlane_b32 s82, v3, 15                                 // 00000000BFAC: D2890052 00011F03
	s_and_b32 s82, s82, 0xffffff                               // 00000000BFB4: 8652FF52 00FFFFFF
	s_cmp_lt_u32 s82, s66                                      // 00000000BFBC: BF0A4252
	s_cselect_b32 s21, s36, s60                                // 00000000BFC0: 85153C24
	s_mov_b64 exec, s[20:21]                                   // 00000000BFC4: BEFE0114
	global_atomic_add_f32 v6, v115, s[8:9] offset:8            // 00000000BFC8: DD348008 00087306
	global_atomic_add_f32 v6, v119, s[8:9] offset:264          // 00000000BFD0: DD348108 00087706
	global_atomic_add_f32 v6, v123, s[8:9] offset:520          // 00000000BFD8: DD348208 00087B06
	global_atomic_add_f32 v6, v127, s[8:9] offset:776          // 00000000BFE0: DD348308 00087F06
	s_mov_b64 exec, s[36:37]                                   // 00000000BFE8: BEFE0124
	v_mov_b32_e32 v6, v58                                      // 00000000BFEC: 7E0C033A
	s_mov_b64 s[60:61], 0                                      // 00000000BFF0: BEBC0180
	v_readlane_b32 s82, v3, 16                                 // 00000000BFF4: D2890052 00012103
	s_and_b32 s82, s82, 0xffffff                               // 00000000BFFC: 8652FF52 00FFFFFF
	s_cmp_lt_u32 s82, s66                                      // 00000000C004: BF0A4252
	s_cselect_b32 s20, s36, s60                                // 00000000C008: 85143C24
	v_readlane_b32 s82, v3, 17                                 // 00000000C00C: D2890052 00012303
	s_and_b32 s82, s82, 0xffffff                               // 00000000C014: 8652FF52 00FFFFFF
	s_cmp_lt_u32 s82, s66                                      // 00000000C01C: BF0A4252
	s_cselect_b32 s21, s36, s60                                // 00000000C020: 85153C24
	s_mov_b64 exec, s[20:21]                                   // 00000000C024: BEFE0114
	global_atomic_add_f32 v6, v130, s[8:9] offset:8            // 00000000C028: DD348008 00088206
	global_atomic_add_f32 v6, v134, s[8:9] offset:264          // 00000000C030: DD348108 00088606
	global_atomic_add_f32 v6, v138, s[8:9] offset:520          // 00000000C038: DD348208 00088A06
	global_atomic_add_f32 v6, v142, s[8:9] offset:776          // 00000000C040: DD348308 00088E06
	s_mov_b64 exec, s[36:37]                                   // 00000000C048: BEFE0124
	v_mov_b32_e32 v6, v59                                      // 00000000C04C: 7E0C033B
	s_mov_b64 s[60:61], 0                                      // 00000000C050: BEBC0180
	v_readlane_b32 s82, v3, 18                                 // 00000000C054: D2890052 00012503
	s_and_b32 s82, s82, 0xffffff                               // 00000000C05C: 8652FF52 00FFFFFF
	s_cmp_lt_u32 s82, s66                                      // 00000000C064: BF0A4252
	s_cselect_b32 s20, s36, s60                                // 00000000C068: 85143C24
	v_readlane_b32 s82, v3, 19                                 // 00000000C06C: D2890052 00012703
	s_and_b32 s82, s82, 0xffffff                               // 00000000C074: 8652FF52 00FFFFFF
	s_cmp_lt_u32 s82, s66                                      // 00000000C07C: BF0A4252
	s_cselect_b32 s21, s36, s60                                // 00000000C080: 85153C24
	s_mov_b64 exec, s[20:21]                                   // 00000000C084: BEFE0114
	global_atomic_add_f32 v6, v131, s[8:9] offset:8            // 00000000C088: DD348008 00088306
	global_atomic_add_f32 v6, v135, s[8:9] offset:264          // 00000000C090: DD348108 00088706
	global_atomic_add_f32 v6, v139, s[8:9] offset:520          // 00000000C098: DD348208 00088B06
	global_atomic_add_f32 v6, v143, s[8:9] offset:776          // 00000000C0A0: DD348308 00088F06
	s_mov_b64 exec, s[36:37]                                   // 00000000C0A8: BEFE0124
	ds_write_b64 v20, v[144:145]                               // 00000000C0AC: D89A0000 00009014
	ds_write_b64 v20, v[148:149] offset:8704                   // 00000000C0B4: D89A2200 00009414
	ds_write_b64 v20, v[152:153] offset:17408                  // 00000000C0BC: D89A4400 00009814
	ds_write_b64 v20, v[156:157] offset:26112                  // 00000000C0C4: D89A6600 00009C14
	ds_write_b64 v20, v[160:161] offset:34816                  // 00000000C0CC: D89A8800 0000A014
	ds_write_b64 v20, v[164:165] offset:2176                   // 00000000C0D4: D89A0880 0000A414
	ds_write_b64 v20, v[168:169] offset:10880                  // 00000000C0DC: D89A2A80 0000A814
	ds_write_b64 v20, v[172:173] offset:19584                  // 00000000C0E4: D89A4C80 0000AC14
	ds_write_b64 v20, v[176:177] offset:28288                  // 00000000C0EC: D89A6E80 0000B014
	ds_write_b64 v20, v[180:181] offset:36992                  // 00000000C0F4: D89A9080 0000B414
	ds_write_b64 v20, v[184:185] offset:4352                   // 00000000C0FC: D89A1100 0000B814
	ds_write_b64 v20, v[188:189] offset:13056                  // 00000000C104: D89A3300 0000BC14
	ds_write_b64 v20, v[192:193] offset:21760                  // 00000000C10C: D89A5500 0000C014
	ds_write_b64 v20, v[196:197] offset:30464                  // 00000000C114: D89A7700 0000C414
	ds_write_b64 v20, v[200:201] offset:39168                  // 00000000C11C: D89A9900 0000C814
	ds_write_b64 v20, v[204:205] offset:6528                   // 00000000C124: D89A1980 0000CC14
	ds_write_b64 v20, v[208:209] offset:15232                  // 00000000C12C: D89A3B80 0000D014
	ds_write_b64 v20, v[212:213] offset:23936                  // 00000000C134: D89A5D80 0000D414
	ds_write_b64 v20, v[216:217] offset:32640                  // 00000000C13C: D89A7F80 0000D814
	ds_write_b64 v20, v[220:221] offset:41344                  // 00000000C144: D89AA180 0000DC14
	s_waitcnt lgkmcnt(0)                                       // 00000000C14C: BF8CC07F
	s_barrier                                                  // 00000000C150: BF8A0000
	ds_read_b32 v144, v21                                      // 00000000C154: D86C0000 90000015
	ds_read_b32 v145, v21 offset:64                            // 00000000C15C: D86C0040 91000015
	ds_read_b32 v148, v21 offset:2176                          // 00000000C164: D86C0880 94000015
	ds_read_b32 v149, v21 offset:2240                          // 00000000C16C: D86C08C0 95000015
	ds_read_b32 v152, v21 offset:4352                          // 00000000C174: D86C1100 98000015
	ds_read_b32 v153, v21 offset:4416                          // 00000000C17C: D86C1140 99000015
	ds_read_b32 v156, v21 offset:6528                          // 00000000C184: D86C1980 9C000015
	ds_read_b32 v157, v21 offset:6592                          // 00000000C18C: D86C19C0 9D000015
	ds_read_b32 v160, v21 offset:8704                          // 00000000C194: D86C2200 A0000015
	ds_read_b32 v161, v21 offset:8768                          // 00000000C19C: D86C2240 A1000015
	ds_read_b32 v164, v21 offset:10880                         // 00000000C1A4: D86C2A80 A4000015
	ds_read_b32 v165, v21 offset:10944                         // 00000000C1AC: D86C2AC0 A5000015
	ds_read_b32 v168, v21 offset:13056                         // 00000000C1B4: D86C3300 A8000015
	ds_read_b32 v169, v21 offset:13120                         // 00000000C1BC: D86C3340 A9000015
	ds_read_b32 v172, v21 offset:15232                         // 00000000C1C4: D86C3B80 AC000015
	ds_read_b32 v173, v21 offset:15296                         // 00000000C1CC: D86C3BC0 AD000015
	ds_read_b32 v176, v21 offset:17408                         // 00000000C1D4: D86C4400 B0000015
	ds_read_b32 v177, v21 offset:17472                         // 00000000C1DC: D86C4440 B1000015
	ds_read_b32 v180, v21 offset:19584                         // 00000000C1E4: D86C4C80 B4000015
	ds_read_b32 v181, v21 offset:19648                         // 00000000C1EC: D86C4CC0 B5000015
	ds_read_b32 v184, v21 offset:21760                         // 00000000C1F4: D86C5500 B8000015
	ds_read_b32 v185, v21 offset:21824                         // 00000000C1FC: D86C5540 B9000015
	ds_read_b32 v188, v21 offset:23936                         // 00000000C204: D86C5D80 BC000015
	ds_read_b32 v189, v21 offset:24000                         // 00000000C20C: D86C5DC0 BD000015
	ds_read_b32 v192, v21 offset:26112                         // 00000000C214: D86C6600 C0000015
	ds_read_b32 v193, v21 offset:26176                         // 00000000C21C: D86C6640 C1000015
	ds_read_b32 v196, v21 offset:28288                         // 00000000C224: D86C6E80 C4000015
	ds_read_b32 v197, v21 offset:28352                         // 00000000C22C: D86C6EC0 C5000015
	ds_read_b32 v200, v21 offset:30464                         // 00000000C234: D86C7700 C8000015
	ds_read_b32 v201, v21 offset:30528                         // 00000000C23C: D86C7740 C9000015
	ds_read_b32 v204, v21 offset:32640                         // 00000000C244: D86C7F80 CC000015
	ds_read_b32 v205, v21 offset:32704                         // 00000000C24C: D86C7FC0 CD000015
	ds_read_b32 v208, v21 offset:34816                         // 00000000C254: D86C8800 D0000015
	ds_read_b32 v209, v21 offset:34880                         // 00000000C25C: D86C8840 D1000015
	ds_read_b32 v212, v21 offset:36992                         // 00000000C264: D86C9080 D4000015
	ds_read_b32 v213, v21 offset:37056                         // 00000000C26C: D86C90C0 D5000015
	ds_read_b32 v216, v21 offset:39168                         // 00000000C274: D86C9900 D8000015
	ds_read_b32 v217, v21 offset:39232                         // 00000000C27C: D86C9940 D9000015
	ds_read_b32 v220, v21 offset:41344                         // 00000000C284: D86CA180 DC000015
	ds_read_b32 v221, v21 offset:41408                         // 00000000C28C: D86CA1C0 DD000015
	s_mul_i32 s60, s65, 4                                      // 00000000C294: 923C8441
	s_add_u32 s8, s60, s8                                      // 00000000C298: 8008083C
	s_addc_u32 s9, 0, s9                                       // 00000000C29C: 82090980
	s_waitcnt lgkmcnt(0)                                       // 00000000C2A0: BF8CC07F
	v_mov_b32_e32 v7, 0                                        // 00000000C2A4: 7E0E0280
	s_mov_b64 exec, s[36:37]                                   // 00000000C2A8: BEFE0124
	v_mov_b32_e32 v6, v50                                      // 00000000C2AC: 7E0C0332
	s_mov_b64 s[60:61], 0                                      // 00000000C2B0: BEBC0180
	v_readlane_b32 s82, v3, 0                                  // 00000000C2B4: D2890052 00010103
	s_and_b32 s82, s82, 0xffffff                               // 00000000C2BC: 8652FF52 00FFFFFF
	s_cmp_lt_u32 s82, s66                                      // 00000000C2C4: BF0A4252
	s_cselect_b32 s20, s36, s60                                // 00000000C2C8: 85143C24
	v_readlane_b32 s82, v3, 1                                  // 00000000C2CC: D2890052 00010303
	s_and_b32 s82, s82, 0xffffff                               // 00000000C2D4: 8652FF52 00FFFFFF
	s_cmp_lt_u32 s82, s66                                      // 00000000C2DC: BF0A4252
	s_cselect_b32 s21, s36, s60                                // 00000000C2E0: 85153C24
	s_mov_b64 exec, s[20:21]                                   // 00000000C2E4: BEFE0114
	global_atomic_add_f32 v6, v144, s[8:9]                     // 00000000C2E8: DD348000 00089006
	global_atomic_add_f32 v6, v148, s[8:9] offset:256          // 00000000C2F0: DD348100 00089406
	global_atomic_add_f32 v6, v152, s[8:9] offset:512          // 00000000C2F8: DD348200 00089806
	global_atomic_add_f32 v6, v156, s[8:9] offset:768          // 00000000C300: DD348300 00089C06
	s_mov_b64 exec, s[36:37]                                   // 00000000C308: BEFE0124
	v_mov_b32_e32 v6, v51                                      // 00000000C30C: 7E0C0333
	s_mov_b64 s[60:61], 0                                      // 00000000C310: BEBC0180
	v_readlane_b32 s82, v3, 2                                  // 00000000C314: D2890052 00010503
	s_and_b32 s82, s82, 0xffffff                               // 00000000C31C: 8652FF52 00FFFFFF
	s_cmp_lt_u32 s82, s66                                      // 00000000C324: BF0A4252
	s_cselect_b32 s20, s36, s60                                // 00000000C328: 85143C24
	v_readlane_b32 s82, v3, 3                                  // 00000000C32C: D2890052 00010703
	s_and_b32 s82, s82, 0xffffff                               // 00000000C334: 8652FF52 00FFFFFF
	s_cmp_lt_u32 s82, s66                                      // 00000000C33C: BF0A4252
	s_cselect_b32 s21, s36, s60                                // 00000000C340: 85153C24
	s_mov_b64 exec, s[20:21]                                   // 00000000C344: BEFE0114
	global_atomic_add_f32 v6, v145, s[8:9]                     // 00000000C348: DD348000 00089106
	global_atomic_add_f32 v6, v149, s[8:9] offset:256          // 00000000C350: DD348100 00089506
	global_atomic_add_f32 v6, v153, s[8:9] offset:512          // 00000000C358: DD348200 00089906
	global_atomic_add_f32 v6, v157, s[8:9] offset:768          // 00000000C360: DD348300 00089D06
	s_mov_b64 exec, s[36:37]                                   // 00000000C368: BEFE0124
	v_mov_b32_e32 v6, v52                                      // 00000000C36C: 7E0C0334
	s_mov_b64 s[60:61], 0                                      // 00000000C370: BEBC0180
	v_readlane_b32 s82, v3, 4                                  // 00000000C374: D2890052 00010903
	s_and_b32 s82, s82, 0xffffff                               // 00000000C37C: 8652FF52 00FFFFFF
	s_cmp_lt_u32 s82, s66                                      // 00000000C384: BF0A4252
	s_cselect_b32 s20, s36, s60                                // 00000000C388: 85143C24
	v_readlane_b32 s82, v3, 5                                  // 00000000C38C: D2890052 00010B03
	s_and_b32 s82, s82, 0xffffff                               // 00000000C394: 8652FF52 00FFFFFF
	s_cmp_lt_u32 s82, s66                                      // 00000000C39C: BF0A4252
	s_cselect_b32 s21, s36, s60                                // 00000000C3A0: 85153C24
	s_mov_b64 exec, s[20:21]                                   // 00000000C3A4: BEFE0114
	global_atomic_add_f32 v6, v160, s[8:9]                     // 00000000C3A8: DD348000 0008A006
	global_atomic_add_f32 v6, v164, s[8:9] offset:256          // 00000000C3B0: DD348100 0008A406
	global_atomic_add_f32 v6, v168, s[8:9] offset:512          // 00000000C3B8: DD348200 0008A806
	global_atomic_add_f32 v6, v172, s[8:9] offset:768          // 00000000C3C0: DD348300 0008AC06
	s_mov_b64 exec, s[36:37]                                   // 00000000C3C8: BEFE0124
	v_mov_b32_e32 v6, v53                                      // 00000000C3CC: 7E0C0335
	s_mov_b64 s[60:61], 0                                      // 00000000C3D0: BEBC0180
	v_readlane_b32 s82, v3, 6                                  // 00000000C3D4: D2890052 00010D03
	s_and_b32 s82, s82, 0xffffff                               // 00000000C3DC: 8652FF52 00FFFFFF
	s_cmp_lt_u32 s82, s66                                      // 00000000C3E4: BF0A4252
	s_cselect_b32 s20, s36, s60                                // 00000000C3E8: 85143C24
	v_readlane_b32 s82, v3, 7                                  // 00000000C3EC: D2890052 00010F03
	s_and_b32 s82, s82, 0xffffff                               // 00000000C3F4: 8652FF52 00FFFFFF
	s_cmp_lt_u32 s82, s66                                      // 00000000C3FC: BF0A4252
	s_cselect_b32 s21, s36, s60                                // 00000000C400: 85153C24
	s_mov_b64 exec, s[20:21]                                   // 00000000C404: BEFE0114
	global_atomic_add_f32 v6, v161, s[8:9]                     // 00000000C408: DD348000 0008A106
	global_atomic_add_f32 v6, v165, s[8:9] offset:256          // 00000000C410: DD348100 0008A506
	global_atomic_add_f32 v6, v169, s[8:9] offset:512          // 00000000C418: DD348200 0008A906
	global_atomic_add_f32 v6, v173, s[8:9] offset:768          // 00000000C420: DD348300 0008AD06
	s_mov_b64 exec, s[36:37]                                   // 00000000C428: BEFE0124
	v_mov_b32_e32 v6, v54                                      // 00000000C42C: 7E0C0336
	s_mov_b64 s[60:61], 0                                      // 00000000C430: BEBC0180
	v_readlane_b32 s82, v3, 8                                  // 00000000C434: D2890052 00011103
	s_and_b32 s82, s82, 0xffffff                               // 00000000C43C: 8652FF52 00FFFFFF
	s_cmp_lt_u32 s82, s66                                      // 00000000C444: BF0A4252
	s_cselect_b32 s20, s36, s60                                // 00000000C448: 85143C24
	v_readlane_b32 s82, v3, 9                                  // 00000000C44C: D2890052 00011303
	s_and_b32 s82, s82, 0xffffff                               // 00000000C454: 8652FF52 00FFFFFF
	s_cmp_lt_u32 s82, s66                                      // 00000000C45C: BF0A4252
	s_cselect_b32 s21, s36, s60                                // 00000000C460: 85153C24
	s_mov_b64 exec, s[20:21]                                   // 00000000C464: BEFE0114
	global_atomic_add_f32 v6, v176, s[8:9]                     // 00000000C468: DD348000 0008B006
	global_atomic_add_f32 v6, v180, s[8:9] offset:256          // 00000000C470: DD348100 0008B406
	global_atomic_add_f32 v6, v184, s[8:9] offset:512          // 00000000C478: DD348200 0008B806
	global_atomic_add_f32 v6, v188, s[8:9] offset:768          // 00000000C480: DD348300 0008BC06
	s_mov_b64 exec, s[36:37]                                   // 00000000C488: BEFE0124
	v_mov_b32_e32 v6, v55                                      // 00000000C48C: 7E0C0337
	s_mov_b64 s[60:61], 0                                      // 00000000C490: BEBC0180
	v_readlane_b32 s82, v3, 10                                 // 00000000C494: D2890052 00011503
	s_and_b32 s82, s82, 0xffffff                               // 00000000C49C: 8652FF52 00FFFFFF
	s_cmp_lt_u32 s82, s66                                      // 00000000C4A4: BF0A4252
	s_cselect_b32 s20, s36, s60                                // 00000000C4A8: 85143C24
	v_readlane_b32 s82, v3, 11                                 // 00000000C4AC: D2890052 00011703
	s_and_b32 s82, s82, 0xffffff                               // 00000000C4B4: 8652FF52 00FFFFFF
	s_cmp_lt_u32 s82, s66                                      // 00000000C4BC: BF0A4252
	s_cselect_b32 s21, s36, s60                                // 00000000C4C0: 85153C24
	s_mov_b64 exec, s[20:21]                                   // 00000000C4C4: BEFE0114
	global_atomic_add_f32 v6, v177, s[8:9]                     // 00000000C4C8: DD348000 0008B106
	global_atomic_add_f32 v6, v181, s[8:9] offset:256          // 00000000C4D0: DD348100 0008B506
	global_atomic_add_f32 v6, v185, s[8:9] offset:512          // 00000000C4D8: DD348200 0008B906
	global_atomic_add_f32 v6, v189, s[8:9] offset:768          // 00000000C4E0: DD348300 0008BD06
	s_mov_b64 exec, s[36:37]                                   // 00000000C4E8: BEFE0124
	v_mov_b32_e32 v6, v56                                      // 00000000C4EC: 7E0C0338
	s_mov_b64 s[60:61], 0                                      // 00000000C4F0: BEBC0180
	v_readlane_b32 s82, v3, 12                                 // 00000000C4F4: D2890052 00011903
	s_and_b32 s82, s82, 0xffffff                               // 00000000C4FC: 8652FF52 00FFFFFF
	s_cmp_lt_u32 s82, s66                                      // 00000000C504: BF0A4252
	s_cselect_b32 s20, s36, s60                                // 00000000C508: 85143C24
	v_readlane_b32 s82, v3, 13                                 // 00000000C50C: D2890052 00011B03
	s_and_b32 s82, s82, 0xffffff                               // 00000000C514: 8652FF52 00FFFFFF
	s_cmp_lt_u32 s82, s66                                      // 00000000C51C: BF0A4252
	s_cselect_b32 s21, s36, s60                                // 00000000C520: 85153C24
	s_mov_b64 exec, s[20:21]                                   // 00000000C524: BEFE0114
	global_atomic_add_f32 v6, v192, s[8:9]                     // 00000000C528: DD348000 0008C006
	global_atomic_add_f32 v6, v196, s[8:9] offset:256          // 00000000C530: DD348100 0008C406
	global_atomic_add_f32 v6, v200, s[8:9] offset:512          // 00000000C538: DD348200 0008C806
	global_atomic_add_f32 v6, v204, s[8:9] offset:768          // 00000000C540: DD348300 0008CC06
	s_mov_b64 exec, s[36:37]                                   // 00000000C548: BEFE0124
	v_mov_b32_e32 v6, v57                                      // 00000000C54C: 7E0C0339
	s_mov_b64 s[60:61], 0                                      // 00000000C550: BEBC0180
	v_readlane_b32 s82, v3, 14                                 // 00000000C554: D2890052 00011D03
	s_and_b32 s82, s82, 0xffffff                               // 00000000C55C: 8652FF52 00FFFFFF
	s_cmp_lt_u32 s82, s66                                      // 00000000C564: BF0A4252
	s_cselect_b32 s20, s36, s60                                // 00000000C568: 85143C24
	v_readlane_b32 s82, v3, 15                                 // 00000000C56C: D2890052 00011F03
	s_and_b32 s82, s82, 0xffffff                               // 00000000C574: 8652FF52 00FFFFFF
	s_cmp_lt_u32 s82, s66                                      // 00000000C57C: BF0A4252
	s_cselect_b32 s21, s36, s60                                // 00000000C580: 85153C24
	s_mov_b64 exec, s[20:21]                                   // 00000000C584: BEFE0114
	global_atomic_add_f32 v6, v193, s[8:9]                     // 00000000C588: DD348000 0008C106
	global_atomic_add_f32 v6, v197, s[8:9] offset:256          // 00000000C590: DD348100 0008C506
	global_atomic_add_f32 v6, v201, s[8:9] offset:512          // 00000000C598: DD348200 0008C906
	global_atomic_add_f32 v6, v205, s[8:9] offset:768          // 00000000C5A0: DD348300 0008CD06
	s_mov_b64 exec, s[36:37]                                   // 00000000C5A8: BEFE0124
	v_mov_b32_e32 v6, v58                                      // 00000000C5AC: 7E0C033A
	s_mov_b64 s[60:61], 0                                      // 00000000C5B0: BEBC0180
	v_readlane_b32 s82, v3, 16                                 // 00000000C5B4: D2890052 00012103
	s_and_b32 s82, s82, 0xffffff                               // 00000000C5BC: 8652FF52 00FFFFFF
	s_cmp_lt_u32 s82, s66                                      // 00000000C5C4: BF0A4252
	s_cselect_b32 s20, s36, s60                                // 00000000C5C8: 85143C24
	v_readlane_b32 s82, v3, 17                                 // 00000000C5CC: D2890052 00012303
	s_and_b32 s82, s82, 0xffffff                               // 00000000C5D4: 8652FF52 00FFFFFF
	s_cmp_lt_u32 s82, s66                                      // 00000000C5DC: BF0A4252
	s_cselect_b32 s21, s36, s60                                // 00000000C5E0: 85153C24
	s_mov_b64 exec, s[20:21]                                   // 00000000C5E4: BEFE0114
	global_atomic_add_f32 v6, v208, s[8:9]                     // 00000000C5E8: DD348000 0008D006
	global_atomic_add_f32 v6, v212, s[8:9] offset:256          // 00000000C5F0: DD348100 0008D406
	global_atomic_add_f32 v6, v216, s[8:9] offset:512          // 00000000C5F8: DD348200 0008D806
	global_atomic_add_f32 v6, v220, s[8:9] offset:768          // 00000000C600: DD348300 0008DC06
	s_mov_b64 exec, s[36:37]                                   // 00000000C608: BEFE0124
	v_mov_b32_e32 v6, v59                                      // 00000000C60C: 7E0C033B
	s_mov_b64 s[60:61], 0                                      // 00000000C610: BEBC0180
	v_readlane_b32 s82, v3, 18                                 // 00000000C614: D2890052 00012503
	s_and_b32 s82, s82, 0xffffff                               // 00000000C61C: 8652FF52 00FFFFFF
	s_cmp_lt_u32 s82, s66                                      // 00000000C624: BF0A4252
	s_cselect_b32 s20, s36, s60                                // 00000000C628: 85143C24
	v_readlane_b32 s82, v3, 19                                 // 00000000C62C: D2890052 00012703
	s_and_b32 s82, s82, 0xffffff                               // 00000000C634: 8652FF52 00FFFFFF
	s_cmp_lt_u32 s82, s66                                      // 00000000C63C: BF0A4252
	s_cselect_b32 s21, s36, s60                                // 00000000C640: 85153C24
	s_mov_b64 exec, s[20:21]                                   // 00000000C644: BEFE0114
	global_atomic_add_f32 v6, v209, s[8:9]                     // 00000000C648: DD348000 0008D106
	global_atomic_add_f32 v6, v213, s[8:9] offset:256          // 00000000C650: DD348100 0008D506
	global_atomic_add_f32 v6, v217, s[8:9] offset:512          // 00000000C658: DD348200 0008D906
	global_atomic_add_f32 v6, v221, s[8:9] offset:768          // 00000000C660: DD348300 0008DD06
	s_mov_b64 exec, s[36:37]                                   // 00000000C668: BEFE0124
	ds_write_b64 v20, v[146:147]                               // 00000000C66C: D89A0000 00009214
	ds_write_b64 v20, v[150:151] offset:8704                   // 00000000C674: D89A2200 00009614
	ds_write_b64 v20, v[154:155] offset:17408                  // 00000000C67C: D89A4400 00009A14
	ds_write_b64 v20, v[158:159] offset:26112                  // 00000000C684: D89A6600 00009E14
	ds_write_b64 v20, v[162:163] offset:34816                  // 00000000C68C: D89A8800 0000A214
	ds_write_b64 v20, v[166:167] offset:2176                   // 00000000C694: D89A0880 0000A614
	ds_write_b64 v20, v[170:171] offset:10880                  // 00000000C69C: D89A2A80 0000AA14
	ds_write_b64 v20, v[174:175] offset:19584                  // 00000000C6A4: D89A4C80 0000AE14
	ds_write_b64 v20, v[178:179] offset:28288                  // 00000000C6AC: D89A6E80 0000B214
	ds_write_b64 v20, v[182:183] offset:36992                  // 00000000C6B4: D89A9080 0000B614
	ds_write_b64 v20, v[186:187] offset:4352                   // 00000000C6BC: D89A1100 0000BA14
	ds_write_b64 v20, v[190:191] offset:13056                  // 00000000C6C4: D89A3300 0000BE14
	ds_write_b64 v20, v[194:195] offset:21760                  // 00000000C6CC: D89A5500 0000C214
	ds_write_b64 v20, v[198:199] offset:30464                  // 00000000C6D4: D89A7700 0000C614
	ds_write_b64 v20, v[202:203] offset:39168                  // 00000000C6DC: D89A9900 0000CA14
	ds_write_b64 v20, v[206:207] offset:6528                   // 00000000C6E4: D89A1980 0000CE14
	ds_write_b64 v20, v[210:211] offset:15232                  // 00000000C6EC: D89A3B80 0000D214
	ds_write_b64 v20, v[214:215] offset:23936                  // 00000000C6F4: D89A5D80 0000D614
	ds_write_b64 v20, v[218:219] offset:32640                  // 00000000C6FC: D89A7F80 0000DA14
	ds_write_b64 v20, v[222:223] offset:41344                  // 00000000C704: D89AA180 0000DE14
	s_waitcnt lgkmcnt(0)                                       // 00000000C70C: BF8CC07F
	s_barrier                                                  // 00000000C710: BF8A0000
	ds_read_b32 v146, v21                                      // 00000000C714: D86C0000 92000015
	ds_read_b32 v147, v21 offset:64                            // 00000000C71C: D86C0040 93000015
	ds_read_b32 v150, v21 offset:2176                          // 00000000C724: D86C0880 96000015
	ds_read_b32 v151, v21 offset:2240                          // 00000000C72C: D86C08C0 97000015
	ds_read_b32 v154, v21 offset:4352                          // 00000000C734: D86C1100 9A000015
	ds_read_b32 v155, v21 offset:4416                          // 00000000C73C: D86C1140 9B000015
	ds_read_b32 v158, v21 offset:6528                          // 00000000C744: D86C1980 9E000015
	ds_read_b32 v159, v21 offset:6592                          // 00000000C74C: D86C19C0 9F000015
	ds_read_b32 v162, v21 offset:8704                          // 00000000C754: D86C2200 A2000015
	ds_read_b32 v163, v21 offset:8768                          // 00000000C75C: D86C2240 A3000015
	ds_read_b32 v166, v21 offset:10880                         // 00000000C764: D86C2A80 A6000015
	ds_read_b32 v167, v21 offset:10944                         // 00000000C76C: D86C2AC0 A7000015
	ds_read_b32 v170, v21 offset:13056                         // 00000000C774: D86C3300 AA000015
	ds_read_b32 v171, v21 offset:13120                         // 00000000C77C: D86C3340 AB000015
	ds_read_b32 v174, v21 offset:15232                         // 00000000C784: D86C3B80 AE000015
	ds_read_b32 v175, v21 offset:15296                         // 00000000C78C: D86C3BC0 AF000015
	ds_read_b32 v178, v21 offset:17408                         // 00000000C794: D86C4400 B2000015
	ds_read_b32 v179, v21 offset:17472                         // 00000000C79C: D86C4440 B3000015
	ds_read_b32 v182, v21 offset:19584                         // 00000000C7A4: D86C4C80 B6000015
	ds_read_b32 v183, v21 offset:19648                         // 00000000C7AC: D86C4CC0 B7000015
	ds_read_b32 v186, v21 offset:21760                         // 00000000C7B4: D86C5500 BA000015
	ds_read_b32 v187, v21 offset:21824                         // 00000000C7BC: D86C5540 BB000015
	ds_read_b32 v190, v21 offset:23936                         // 00000000C7C4: D86C5D80 BE000015
	ds_read_b32 v191, v21 offset:24000                         // 00000000C7CC: D86C5DC0 BF000015
	ds_read_b32 v194, v21 offset:26112                         // 00000000C7D4: D86C6600 C2000015
	ds_read_b32 v195, v21 offset:26176                         // 00000000C7DC: D86C6640 C3000015
	ds_read_b32 v198, v21 offset:28288                         // 00000000C7E4: D86C6E80 C6000015
	ds_read_b32 v199, v21 offset:28352                         // 00000000C7EC: D86C6EC0 C7000015
	ds_read_b32 v202, v21 offset:30464                         // 00000000C7F4: D86C7700 CA000015
	ds_read_b32 v203, v21 offset:30528                         // 00000000C7FC: D86C7740 CB000015
	ds_read_b32 v206, v21 offset:32640                         // 00000000C804: D86C7F80 CE000015
	ds_read_b32 v207, v21 offset:32704                         // 00000000C80C: D86C7FC0 CF000015
	ds_read_b32 v210, v21 offset:34816                         // 00000000C814: D86C8800 D2000015
	ds_read_b32 v211, v21 offset:34880                         // 00000000C81C: D86C8840 D3000015
	ds_read_b32 v214, v21 offset:36992                         // 00000000C824: D86C9080 D6000015
	ds_read_b32 v215, v21 offset:37056                         // 00000000C82C: D86C90C0 D7000015
	ds_read_b32 v218, v21 offset:39168                         // 00000000C834: D86C9900 DA000015
	ds_read_b32 v219, v21 offset:39232                         // 00000000C83C: D86C9940 DB000015
	ds_read_b32 v222, v21 offset:41344                         // 00000000C844: D86CA180 DE000015
	ds_read_b32 v223, v21 offset:41408                         // 00000000C84C: D86CA1C0 DF000015
	s_waitcnt lgkmcnt(0)                                       // 00000000C854: BF8CC07F
	v_mov_b32_e32 v7, 0                                        // 00000000C858: 7E0E0280
	s_mov_b64 exec, s[36:37]                                   // 00000000C85C: BEFE0124
	v_mov_b32_e32 v6, v50                                      // 00000000C860: 7E0C0332
	s_mov_b64 s[60:61], 0                                      // 00000000C864: BEBC0180
	v_readlane_b32 s82, v3, 0                                  // 00000000C868: D2890052 00010103
	s_and_b32 s82, s82, 0xffffff                               // 00000000C870: 8652FF52 00FFFFFF
	s_cmp_lt_u32 s82, s66                                      // 00000000C878: BF0A4252
	s_cselect_b32 s20, s36, s60                                // 00000000C87C: 85143C24
	v_readlane_b32 s82, v3, 1                                  // 00000000C880: D2890052 00010303
	s_and_b32 s82, s82, 0xffffff                               // 00000000C888: 8652FF52 00FFFFFF
	s_cmp_lt_u32 s82, s66                                      // 00000000C890: BF0A4252
	s_cselect_b32 s21, s36, s60                                // 00000000C894: 85153C24
	s_mov_b64 exec, s[20:21]                                   // 00000000C898: BEFE0114
	global_atomic_add_f32 v6, v146, s[8:9] offset:8            // 00000000C89C: DD348008 00089206
	global_atomic_add_f32 v6, v150, s[8:9] offset:264          // 00000000C8A4: DD348108 00089606
	global_atomic_add_f32 v6, v154, s[8:9] offset:520          // 00000000C8AC: DD348208 00089A06
	global_atomic_add_f32 v6, v158, s[8:9] offset:776          // 00000000C8B4: DD348308 00089E06
	s_mov_b64 exec, s[36:37]                                   // 00000000C8BC: BEFE0124
	v_mov_b32_e32 v6, v51                                      // 00000000C8C0: 7E0C0333
	s_mov_b64 s[60:61], 0                                      // 00000000C8C4: BEBC0180
	v_readlane_b32 s82, v3, 2                                  // 00000000C8C8: D2890052 00010503
	s_and_b32 s82, s82, 0xffffff                               // 00000000C8D0: 8652FF52 00FFFFFF
	s_cmp_lt_u32 s82, s66                                      // 00000000C8D8: BF0A4252
	s_cselect_b32 s20, s36, s60                                // 00000000C8DC: 85143C24
	v_readlane_b32 s82, v3, 3                                  // 00000000C8E0: D2890052 00010703
	s_and_b32 s82, s82, 0xffffff                               // 00000000C8E8: 8652FF52 00FFFFFF
	s_cmp_lt_u32 s82, s66                                      // 00000000C8F0: BF0A4252
	s_cselect_b32 s21, s36, s60                                // 00000000C8F4: 85153C24
	s_mov_b64 exec, s[20:21]                                   // 00000000C8F8: BEFE0114
	global_atomic_add_f32 v6, v147, s[8:9] offset:8            // 00000000C8FC: DD348008 00089306
	global_atomic_add_f32 v6, v151, s[8:9] offset:264          // 00000000C904: DD348108 00089706
	global_atomic_add_f32 v6, v155, s[8:9] offset:520          // 00000000C90C: DD348208 00089B06
	global_atomic_add_f32 v6, v159, s[8:9] offset:776          // 00000000C914: DD348308 00089F06
	s_mov_b64 exec, s[36:37]                                   // 00000000C91C: BEFE0124
	v_mov_b32_e32 v6, v52                                      // 00000000C920: 7E0C0334
	s_mov_b64 s[60:61], 0                                      // 00000000C924: BEBC0180
	v_readlane_b32 s82, v3, 4                                  // 00000000C928: D2890052 00010903
	s_and_b32 s82, s82, 0xffffff                               // 00000000C930: 8652FF52 00FFFFFF
	s_cmp_lt_u32 s82, s66                                      // 00000000C938: BF0A4252
	s_cselect_b32 s20, s36, s60                                // 00000000C93C: 85143C24
	v_readlane_b32 s82, v3, 5                                  // 00000000C940: D2890052 00010B03
	s_and_b32 s82, s82, 0xffffff                               // 00000000C948: 8652FF52 00FFFFFF
	s_cmp_lt_u32 s82, s66                                      // 00000000C950: BF0A4252
	s_cselect_b32 s21, s36, s60                                // 00000000C954: 85153C24
	s_mov_b64 exec, s[20:21]                                   // 00000000C958: BEFE0114
	global_atomic_add_f32 v6, v162, s[8:9] offset:8            // 00000000C95C: DD348008 0008A206
	global_atomic_add_f32 v6, v166, s[8:9] offset:264          // 00000000C964: DD348108 0008A606
	global_atomic_add_f32 v6, v170, s[8:9] offset:520          // 00000000C96C: DD348208 0008AA06
	global_atomic_add_f32 v6, v174, s[8:9] offset:776          // 00000000C974: DD348308 0008AE06
	s_mov_b64 exec, s[36:37]                                   // 00000000C97C: BEFE0124
	v_mov_b32_e32 v6, v53                                      // 00000000C980: 7E0C0335
	s_mov_b64 s[60:61], 0                                      // 00000000C984: BEBC0180
	v_readlane_b32 s82, v3, 6                                  // 00000000C988: D2890052 00010D03
	s_and_b32 s82, s82, 0xffffff                               // 00000000C990: 8652FF52 00FFFFFF
	s_cmp_lt_u32 s82, s66                                      // 00000000C998: BF0A4252
	s_cselect_b32 s20, s36, s60                                // 00000000C99C: 85143C24
	v_readlane_b32 s82, v3, 7                                  // 00000000C9A0: D2890052 00010F03
	s_and_b32 s82, s82, 0xffffff                               // 00000000C9A8: 8652FF52 00FFFFFF
	s_cmp_lt_u32 s82, s66                                      // 00000000C9B0: BF0A4252
	s_cselect_b32 s21, s36, s60                                // 00000000C9B4: 85153C24
	s_mov_b64 exec, s[20:21]                                   // 00000000C9B8: BEFE0114
	global_atomic_add_f32 v6, v163, s[8:9] offset:8            // 00000000C9BC: DD348008 0008A306
	global_atomic_add_f32 v6, v167, s[8:9] offset:264          // 00000000C9C4: DD348108 0008A706
	global_atomic_add_f32 v6, v171, s[8:9] offset:520          // 00000000C9CC: DD348208 0008AB06
	global_atomic_add_f32 v6, v175, s[8:9] offset:776          // 00000000C9D4: DD348308 0008AF06
	s_mov_b64 exec, s[36:37]                                   // 00000000C9DC: BEFE0124
	v_mov_b32_e32 v6, v54                                      // 00000000C9E0: 7E0C0336
	s_mov_b64 s[60:61], 0                                      // 00000000C9E4: BEBC0180
	v_readlane_b32 s82, v3, 8                                  // 00000000C9E8: D2890052 00011103
	s_and_b32 s82, s82, 0xffffff                               // 00000000C9F0: 8652FF52 00FFFFFF
	s_cmp_lt_u32 s82, s66                                      // 00000000C9F8: BF0A4252
	s_cselect_b32 s20, s36, s60                                // 00000000C9FC: 85143C24
	v_readlane_b32 s82, v3, 9                                  // 00000000CA00: D2890052 00011303
	s_and_b32 s82, s82, 0xffffff                               // 00000000CA08: 8652FF52 00FFFFFF
	s_cmp_lt_u32 s82, s66                                      // 00000000CA10: BF0A4252
	s_cselect_b32 s21, s36, s60                                // 00000000CA14: 85153C24
	s_mov_b64 exec, s[20:21]                                   // 00000000CA18: BEFE0114
	global_atomic_add_f32 v6, v178, s[8:9] offset:8            // 00000000CA1C: DD348008 0008B206
	global_atomic_add_f32 v6, v182, s[8:9] offset:264          // 00000000CA24: DD348108 0008B606
	global_atomic_add_f32 v6, v186, s[8:9] offset:520          // 00000000CA2C: DD348208 0008BA06
	global_atomic_add_f32 v6, v190, s[8:9] offset:776          // 00000000CA34: DD348308 0008BE06
	s_mov_b64 exec, s[36:37]                                   // 00000000CA3C: BEFE0124
	v_mov_b32_e32 v6, v55                                      // 00000000CA40: 7E0C0337
	s_mov_b64 s[60:61], 0                                      // 00000000CA44: BEBC0180
	v_readlane_b32 s82, v3, 10                                 // 00000000CA48: D2890052 00011503
	s_and_b32 s82, s82, 0xffffff                               // 00000000CA50: 8652FF52 00FFFFFF
	s_cmp_lt_u32 s82, s66                                      // 00000000CA58: BF0A4252
	s_cselect_b32 s20, s36, s60                                // 00000000CA5C: 85143C24
	v_readlane_b32 s82, v3, 11                                 // 00000000CA60: D2890052 00011703
	s_and_b32 s82, s82, 0xffffff                               // 00000000CA68: 8652FF52 00FFFFFF
	s_cmp_lt_u32 s82, s66                                      // 00000000CA70: BF0A4252
	s_cselect_b32 s21, s36, s60                                // 00000000CA74: 85153C24
	s_mov_b64 exec, s[20:21]                                   // 00000000CA78: BEFE0114
	global_atomic_add_f32 v6, v179, s[8:9] offset:8            // 00000000CA7C: DD348008 0008B306
	global_atomic_add_f32 v6, v183, s[8:9] offset:264          // 00000000CA84: DD348108 0008B706
	global_atomic_add_f32 v6, v187, s[8:9] offset:520          // 00000000CA8C: DD348208 0008BB06
	global_atomic_add_f32 v6, v191, s[8:9] offset:776          // 00000000CA94: DD348308 0008BF06
	s_mov_b64 exec, s[36:37]                                   // 00000000CA9C: BEFE0124
	v_mov_b32_e32 v6, v56                                      // 00000000CAA0: 7E0C0338
	s_mov_b64 s[60:61], 0                                      // 00000000CAA4: BEBC0180
	v_readlane_b32 s82, v3, 12                                 // 00000000CAA8: D2890052 00011903
	s_and_b32 s82, s82, 0xffffff                               // 00000000CAB0: 8652FF52 00FFFFFF
	s_cmp_lt_u32 s82, s66                                      // 00000000CAB8: BF0A4252
	s_cselect_b32 s20, s36, s60                                // 00000000CABC: 85143C24
	v_readlane_b32 s82, v3, 13                                 // 00000000CAC0: D2890052 00011B03
	s_and_b32 s82, s82, 0xffffff                               // 00000000CAC8: 8652FF52 00FFFFFF
	s_cmp_lt_u32 s82, s66                                      // 00000000CAD0: BF0A4252
	s_cselect_b32 s21, s36, s60                                // 00000000CAD4: 85153C24
	s_mov_b64 exec, s[20:21]                                   // 00000000CAD8: BEFE0114
	global_atomic_add_f32 v6, v194, s[8:9] offset:8            // 00000000CADC: DD348008 0008C206
	global_atomic_add_f32 v6, v198, s[8:9] offset:264          // 00000000CAE4: DD348108 0008C606
	global_atomic_add_f32 v6, v202, s[8:9] offset:520          // 00000000CAEC: DD348208 0008CA06
	global_atomic_add_f32 v6, v206, s[8:9] offset:776          // 00000000CAF4: DD348308 0008CE06
	s_mov_b64 exec, s[36:37]                                   // 00000000CAFC: BEFE0124
	v_mov_b32_e32 v6, v57                                      // 00000000CB00: 7E0C0339
	s_mov_b64 s[60:61], 0                                      // 00000000CB04: BEBC0180
	v_readlane_b32 s82, v3, 14                                 // 00000000CB08: D2890052 00011D03
	s_and_b32 s82, s82, 0xffffff                               // 00000000CB10: 8652FF52 00FFFFFF
	s_cmp_lt_u32 s82, s66                                      // 00000000CB18: BF0A4252
	s_cselect_b32 s20, s36, s60                                // 00000000CB1C: 85143C24
	v_readlane_b32 s82, v3, 15                                 // 00000000CB20: D2890052 00011F03
	s_and_b32 s82, s82, 0xffffff                               // 00000000CB28: 8652FF52 00FFFFFF
	s_cmp_lt_u32 s82, s66                                      // 00000000CB30: BF0A4252
	s_cselect_b32 s21, s36, s60                                // 00000000CB34: 85153C24
	s_mov_b64 exec, s[20:21]                                   // 00000000CB38: BEFE0114
	global_atomic_add_f32 v6, v195, s[8:9] offset:8            // 00000000CB3C: DD348008 0008C306
	global_atomic_add_f32 v6, v199, s[8:9] offset:264          // 00000000CB44: DD348108 0008C706
	global_atomic_add_f32 v6, v203, s[8:9] offset:520          // 00000000CB4C: DD348208 0008CB06
	global_atomic_add_f32 v6, v207, s[8:9] offset:776          // 00000000CB54: DD348308 0008CF06
	s_mov_b64 exec, s[36:37]                                   // 00000000CB5C: BEFE0124
	v_mov_b32_e32 v6, v58                                      // 00000000CB60: 7E0C033A
	s_mov_b64 s[60:61], 0                                      // 00000000CB64: BEBC0180
	v_readlane_b32 s82, v3, 16                                 // 00000000CB68: D2890052 00012103
	s_and_b32 s82, s82, 0xffffff                               // 00000000CB70: 8652FF52 00FFFFFF
	s_cmp_lt_u32 s82, s66                                      // 00000000CB78: BF0A4252
	s_cselect_b32 s20, s36, s60                                // 00000000CB7C: 85143C24
	v_readlane_b32 s82, v3, 17                                 // 00000000CB80: D2890052 00012303
	s_and_b32 s82, s82, 0xffffff                               // 00000000CB88: 8652FF52 00FFFFFF
	s_cmp_lt_u32 s82, s66                                      // 00000000CB90: BF0A4252
	s_cselect_b32 s21, s36, s60                                // 00000000CB94: 85153C24
	s_mov_b64 exec, s[20:21]                                   // 00000000CB98: BEFE0114
	global_atomic_add_f32 v6, v210, s[8:9] offset:8            // 00000000CB9C: DD348008 0008D206
	global_atomic_add_f32 v6, v214, s[8:9] offset:264          // 00000000CBA4: DD348108 0008D606
	global_atomic_add_f32 v6, v218, s[8:9] offset:520          // 00000000CBAC: DD348208 0008DA06
	global_atomic_add_f32 v6, v222, s[8:9] offset:776          // 00000000CBB4: DD348308 0008DE06
	s_mov_b64 exec, s[36:37]                                   // 00000000CBBC: BEFE0124
	v_mov_b32_e32 v6, v59                                      // 00000000CBC0: 7E0C033B
	s_mov_b64 s[60:61], 0                                      // 00000000CBC4: BEBC0180
	v_readlane_b32 s82, v3, 18                                 // 00000000CBC8: D2890052 00012503
	s_and_b32 s82, s82, 0xffffff                               // 00000000CBD0: 8652FF52 00FFFFFF
	s_cmp_lt_u32 s82, s66                                      // 00000000CBD8: BF0A4252
	s_cselect_b32 s20, s36, s60                                // 00000000CBDC: 85143C24
	v_readlane_b32 s82, v3, 19                                 // 00000000CBE0: D2890052 00012703
	s_and_b32 s82, s82, 0xffffff                               // 00000000CBE8: 8652FF52 00FFFFFF
	s_cmp_lt_u32 s82, s66                                      // 00000000CBF0: BF0A4252
	s_cselect_b32 s21, s36, s60                                // 00000000CBF4: 85153C24
	s_mov_b64 exec, s[20:21]                                   // 00000000CBF8: BEFE0114
	global_atomic_add_f32 v6, v211, s[8:9] offset:8            // 00000000CBFC: DD348008 0008D306
	global_atomic_add_f32 v6, v215, s[8:9] offset:264          // 00000000CC04: DD348108 0008D706
	global_atomic_add_f32 v6, v219, s[8:9] offset:520          // 00000000CC0C: DD348208 0008DB06
	global_atomic_add_f32 v6, v223, s[8:9] offset:776          // 00000000CC14: DD348308 0008DF06
	s_mov_b64 exec, s[36:37]                                   // 00000000CC1C: BEFE0124
	s_branch label_4DE4                                        // 00000000CC20: BF822558

000000000000cc24 <label_288C>:
	s_waitcnt vmcnt(24) lgkmcnt(0)                             // 00000000CC24: BF8C4078
	v_mul_f32_dpp v4, v24, v35 row_newbcast:0 row_mask:0xf bank_mask:0xf// 00000000CC28: 0A0846FA FF015018
	v_mfma_f32_16x16x32_fp8_fp8 v[8:11], a[80:81], a[0:1], 0   // 00000000CC30: D3F30008 1A020150
	buffer_load_dword v25, v22, s[32:35], 0 offen              // 00000000CC38: E0501000 80081916
	buffer_load_dwordx4 a[144:147], v60, s[24:27], 0 offen     // 00000000CC40: E05C1000 8086903C
	v_mfma_f32_16x16x32_fp8_fp8 v[8:11], a[82:83], a[2:3], v[8:11]// 00000000CC48: D3F30008 1C220552
	v_mfma_f32_16x16x32_fp8_fp8 v[8:11], a[84:85], a[4:5], v[8:11]// 00000000CC50: D3F30008 1C220954
	v_mfma_f32_16x16x32_fp8_fp8 v[8:11], a[86:87], a[6:7], v[8:11]// 00000000CC58: D3F30008 1C220D56
	v_mfma_f32_16x16x32_fp8_fp8 v[12:15], a[88:89], a[0:1], 0  // 00000000CC60: D3F3000C 1A020158
	buffer_load_dwordx4 a[148:151], v60, s[24:27], 0 offen offset:1024// 00000000CC68: E05C1400 8086943C
	v_mfma_f32_16x16x32_fp8_fp8 v[12:15], a[90:91], a[2:3], v[12:15]// 00000000CC70: D3F3000C 1C32055A
	v_mfma_f32_16x16x32_fp8_fp8 v[12:15], a[92:93], a[4:5], v[12:15]// 00000000CC78: D3F3000C 1C32095C
	v_mfma_f32_16x16x32_fp8_fp8 v[12:15], a[94:95], a[6:7], v[12:15]// 00000000CC80: D3F3000C 1C320D5E
	v_fma_f32 v64, v8, v4, v64                                 // 00000000CC88: D1CB0040 05020908
	v_fma_f32 v65, v9, v4, v65                                 // 00000000CC90: D1CB0041 05060909
	v_fma_f32 v66, v10, v4, v66                                // 00000000CC98: D1CB0042 050A090A
	v_fma_f32 v67, v11, v4, v67                                // 00000000CCA0: D1CB0043 050E090B
	v_mul_f32_dpp v6, v24, v35 row_newbcast:1 row_mask:0xf bank_mask:0xf// 00000000CCA8: 0A0C46FA FF015118
	v_mfma_f32_16x16x32_fp8_fp8 v[8:11], a[96:97], a[0:1], 0   // 00000000CCB0: D3F30008 1A020160
	buffer_load_dwordx4 a[152:155], v61, s[24:27], 0 offen     // 00000000CCB8: E05C1000 8086983D
	v_mfma_f32_16x16x32_fp8_fp8 v[8:11], a[98:99], a[2:3], v[8:11]// 00000000CCC0: D3F30008 1C220562
	v_mfma_f32_16x16x32_fp8_fp8 v[8:11], a[100:101], a[4:5], v[8:11]// 00000000CCC8: D3F30008 1C220964
	v_mfma_f32_16x16x32_fp8_fp8 v[8:11], a[102:103], a[6:7], v[8:11]// 00000000CCD0: D3F30008 1C220D66
	v_fma_f32 v84, v12, v4, v84                                // 00000000CCD8: D1CB0054 0552090C
	v_fma_f32 v85, v13, v4, v85                                // 00000000CCE0: D1CB0055 0556090D
	v_fma_f32 v86, v14, v4, v86                                // 00000000CCE8: D1CB0056 055A090E
	v_fma_f32 v87, v15, v4, v87                                // 00000000CCF0: D1CB0057 055E090F
	v_mfma_f32_16x16x32_fp8_fp8 v[12:15], a[104:105], a[0:1], 0// 00000000CCF8: D3F3000C 1A020168
	buffer_load_dwordx4 a[156:159], v61, s[24:27], 0 offen offset:1024// 00000000CD00: E05C1400 80869C3D
	v_mfma_f32_16x16x32_fp8_fp8 v[12:15], a[106:107], a[2:3], v[12:15]// 00000000CD08: D3F3000C 1C32056A
	v_mfma_f32_16x16x32_fp8_fp8 v[12:15], a[108:109], a[4:5], v[12:15]// 00000000CD10: D3F3000C 1C32096C
	v_mfma_f32_16x16x32_fp8_fp8 v[12:15], a[110:111], a[6:7], v[12:15]// 00000000CD18: D3F3000C 1C320D6E
	v_fma_f32 v104, v8, v6, v104                               // 00000000CD20: D1CB0068 05A20D08
	v_fma_f32 v105, v9, v6, v105                               // 00000000CD28: D1CB0069 05A60D09
	v_fma_f32 v106, v10, v6, v106                              // 00000000CD30: D1CB006A 05AA0D0A
	v_fma_f32 v107, v11, v6, v107                              // 00000000CD38: D1CB006B 05AE0D0B
	v_mul_f32_dpp v4, v24, v36 row_newbcast:0 row_mask:0xf bank_mask:0xf// 00000000CD40: 0A0848FA FF015018
	v_mfma_f32_16x16x32_fp8_fp8 v[8:11], a[80:81], a[8:9], 0   // 00000000CD48: D3F30008 1A021150
	buffer_load_dwordx4 a[160:163], v62, s[24:27], 0 offen     // 00000000CD50: E05C1000 8086A03E
	v_mfma_f32_16x16x32_fp8_fp8 v[8:11], a[82:83], a[10:11], v[8:11]// 00000000CD58: D3F30008 1C221552
	v_mfma_f32_16x16x32_fp8_fp8 v[8:11], a[84:85], a[12:13], v[8:11]// 00000000CD60: D3F30008 1C221954
	v_mfma_f32_16x16x32_fp8_fp8 v[8:11], a[86:87], a[14:15], v[8:11]// 00000000CD68: D3F30008 1C221D56
	v_fma_f32 v124, v12, v6, v124                              // 00000000CD70: D1CB007C 05F20D0C
	v_fma_f32 v125, v13, v6, v125                              // 00000000CD78: D1CB007D 05F60D0D
	v_fma_f32 v126, v14, v6, v126                              // 00000000CD80: D1CB007E 05FA0D0E
	v_fma_f32 v127, v15, v6, v127                              // 00000000CD88: D1CB007F 05FE0D0F
	v_mfma_f32_16x16x32_fp8_fp8 v[12:15], a[88:89], a[8:9], 0  // 00000000CD90: D3F3000C 1A021158
	buffer_load_dwordx4 a[164:167], v62, s[24:27], 0 offen offset:1024// 00000000CD98: E05C1400 8086A43E
	v_mfma_f32_16x16x32_fp8_fp8 v[12:15], a[90:91], a[10:11], v[12:15]// 00000000CDA0: D3F3000C 1C32155A
	v_mfma_f32_16x16x32_fp8_fp8 v[12:15], a[92:93], a[12:13], v[12:15]// 00000000CDA8: D3F3000C 1C32195C
	v_mfma_f32_16x16x32_fp8_fp8 v[12:15], a[94:95], a[14:15], v[12:15]// 00000000CDB0: D3F3000C 1C321D5E
	v_fma_f32 v68, v8, v4, v68                                 // 00000000CDB8: D1CB0044 05120908
	v_fma_f32 v69, v9, v4, v69                                 // 00000000CDC0: D1CB0045 05160909
	v_fma_f32 v70, v10, v4, v70                                // 00000000CDC8: D1CB0046 051A090A
	v_fma_f32 v71, v11, v4, v71                                // 00000000CDD0: D1CB0047 051E090B
	v_mul_f32_dpp v6, v24, v36 row_newbcast:1 row_mask:0xf bank_mask:0xf// 00000000CDD8: 0A0C48FA FF015118
	v_mfma_f32_16x16x32_fp8_fp8 v[8:11], a[96:97], a[8:9], 0   // 00000000CDE0: D3F30008 1A021160
	buffer_load_dwordx4 a[168:171], v63, s[24:27], 0 offen     // 00000000CDE8: E05C1000 8086A83F
	v_mfma_f32_16x16x32_fp8_fp8 v[8:11], a[98:99], a[10:11], v[8:11]// 00000000CDF0: D3F30008 1C221562
	v_mfma_f32_16x16x32_fp8_fp8 v[8:11], a[100:101], a[12:13], v[8:11]// 00000000CDF8: D3F30008 1C221964
	v_mfma_f32_16x16x32_fp8_fp8 v[8:11], a[102:103], a[14:15], v[8:11]// 00000000CE00: D3F30008 1C221D66
	v_fma_f32 v88, v12, v4, v88                                // 00000000CE08: D1CB0058 0562090C
	v_fma_f32 v89, v13, v4, v89                                // 00000000CE10: D1CB0059 0566090D
	v_fma_f32 v90, v14, v4, v90                                // 00000000CE18: D1CB005A 056A090E
	v_fma_f32 v91, v15, v4, v91                                // 00000000CE20: D1CB005B 056E090F
	v_mfma_f32_16x16x32_fp8_fp8 v[12:15], a[104:105], a[8:9], 0// 00000000CE28: D3F3000C 1A021168
	buffer_load_dwordx4 a[172:175], v63, s[24:27], 0 offen offset:1024// 00000000CE30: E05C1400 8086AC3F
	buffer_load_dword v50, s[20:23], 0 offen lds               // 00000000CE38: E0511000 80050032
	s_add_u32 m0, 0x100, s50                                   // 00000000CE40: 807C32FF 00000100
	v_mfma_f32_16x16x32_fp8_fp8 v[12:15], a[106:107], a[10:11], v[12:15]// 00000000CE48: D3F3000C 1C32156A
	v_mfma_f32_16x16x32_fp8_fp8 v[12:15], a[108:109], a[12:13], v[12:15]// 00000000CE50: D3F3000C 1C32196C
	buffer_load_dword v51, s[20:23], 0 offen lds               // 00000000CE58: E0511000 80050033
	s_add_u32 m0, 0x200, s50                                   // 00000000CE60: 807C32FF 00000200
	v_mfma_f32_16x16x32_fp8_fp8 v[12:15], a[110:111], a[14:15], v[12:15]// 00000000CE68: D3F3000C 1C321D6E
	v_fma_f32 v108, v8, v6, v108                               // 00000000CE70: D1CB006C 05B20D08
	v_fma_f32 v109, v9, v6, v109                               // 00000000CE78: D1CB006D 05B60D09
	v_fma_f32 v110, v10, v6, v110                              // 00000000CE80: D1CB006E 05BA0D0A
	v_fma_f32 v111, v11, v6, v111                              // 00000000CE88: D1CB006F 05BE0D0B
	v_mul_f32_dpp v4, v24, v37 row_newbcast:0 row_mask:0xf bank_mask:0xf// 00000000CE90: 0A084AFA FF015018
	v_mfma_f32_16x16x32_fp8_fp8 v[8:11], a[80:81], a[16:17], 0 // 00000000CE98: D3F30008 1A022150
	buffer_load_dword v52, s[20:23], 0 offen lds               // 00000000CEA0: E0511000 80050034
	s_add_u32 m0, 0x300, s50                                   // 00000000CEA8: 807C32FF 00000300
	v_mfma_f32_16x16x32_fp8_fp8 v[8:11], a[82:83], a[18:19], v[8:11]// 00000000CEB0: D3F30008 1C222552
	v_mfma_f32_16x16x32_fp8_fp8 v[8:11], a[84:85], a[20:21], v[8:11]// 00000000CEB8: D3F30008 1C222954
	buffer_load_dword v53, s[20:23], 0 offen lds               // 00000000CEC0: E0511000 80050035
	s_add_u32 m0, 0x400, s50                                   // 00000000CEC8: 807C32FF 00000400
	v_mfma_f32_16x16x32_fp8_fp8 v[8:11], a[86:87], a[22:23], v[8:11]// 00000000CED0: D3F30008 1C222D56
	v_fma_f32 v128, v12, v6, v128                              // 00000000CED8: D1CB0080 06020D0C
	v_fma_f32 v129, v13, v6, v129                              // 00000000CEE0: D1CB0081 06060D0D
	v_fma_f32 v130, v14, v6, v130                              // 00000000CEE8: D1CB0082 060A0D0E
	v_fma_f32 v131, v15, v6, v131                              // 00000000CEF0: D1CB0083 060E0D0F
	v_mfma_f32_16x16x32_fp8_fp8 v[12:15], a[88:89], a[16:17], 0// 00000000CEF8: D3F3000C 1A022158
	buffer_load_dword v54, s[20:23], 0 offen lds               // 00000000CF00: E0511000 80050036
	s_add_u32 m0, 0x500, s50                                   // 00000000CF08: 807C32FF 00000500
	v_mfma_f32_16x16x32_fp8_fp8 v[12:15], a[90:91], a[18:19], v[12:15]// 00000000CF10: D3F3000C 1C32255A
	v_mfma_f32_16x16x32_fp8_fp8 v[12:15], a[92:93], a[20:21], v[12:15]// 00000000CF18: D3F3000C 1C32295C
	buffer_load_dword v55, s[20:23], 0 offen lds               // 00000000CF20: E0511000 80050037
	s_add_u32 m0, 0x600, s50                                   // 00000000CF28: 807C32FF 00000600
	v_mfma_f32_16x16x32_fp8_fp8 v[12:15], a[94:95], a[22:23], v[12:15]// 00000000CF30: D3F3000C 1C322D5E
	v_fma_f32 v72, v8, v4, v72                                 // 00000000CF38: D1CB0048 05220908
	v_fma_f32 v73, v9, v4, v73                                 // 00000000CF40: D1CB0049 05260909
	v_fma_f32 v74, v10, v4, v74                                // 00000000CF48: D1CB004A 052A090A
	v_fma_f32 v75, v11, v4, v75                                // 00000000CF50: D1CB004B 052E090B
	v_mul_f32_dpp v6, v24, v37 row_newbcast:1 row_mask:0xf bank_mask:0xf// 00000000CF58: 0A0C4AFA FF015118
	v_mfma_f32_16x16x32_fp8_fp8 v[8:11], a[96:97], a[16:17], 0 // 00000000CF60: D3F30008 1A022160
	buffer_load_dword v56, s[20:23], 0 offen lds               // 00000000CF68: E0511000 80050038
	s_add_u32 m0, 0x700, s50                                   // 00000000CF70: 807C32FF 00000700
	v_mfma_f32_16x16x32_fp8_fp8 v[8:11], a[98:99], a[18:19], v[8:11]// 00000000CF78: D3F30008 1C222562
	v_mfma_f32_16x16x32_fp8_fp8 v[8:11], a[100:101], a[20:21], v[8:11]// 00000000CF80: D3F30008 1C222964
	buffer_load_dword v57, s[20:23], 0 offen lds               // 00000000CF88: E0511000 80050039
	s_add_u32 m0, 0x800, s50                                   // 00000000CF90: 807C32FF 00000800
	v_mfma_f32_16x16x32_fp8_fp8 v[8:11], a[102:103], a[22:23], v[8:11]// 00000000CF98: D3F30008 1C222D66
	v_fma_f32 v92, v12, v4, v92                                // 00000000CFA0: D1CB005C 0572090C
	v_fma_f32 v93, v13, v4, v93                                // 00000000CFA8: D1CB005D 0576090D
	v_fma_f32 v94, v14, v4, v94                                // 00000000CFB0: D1CB005E 057A090E
	v_fma_f32 v95, v15, v4, v95                                // 00000000CFB8: D1CB005F 057E090F
	v_mfma_f32_16x16x32_fp8_fp8 v[12:15], a[104:105], a[16:17], 0// 00000000CFC0: D3F3000C 1A022168
	buffer_load_dword v58, s[20:23], 0 offen lds               // 00000000CFC8: E0511000 8005003A
	s_add_u32 m0, 0x900, s50                                   // 00000000CFD0: 807C32FF 00000900
	v_mfma_f32_16x16x32_fp8_fp8 v[12:15], a[106:107], a[18:19], v[12:15]// 00000000CFD8: D3F3000C 1C32256A
	v_mfma_f32_16x16x32_fp8_fp8 v[12:15], a[108:109], a[20:21], v[12:15]// 00000000CFE0: D3F3000C 1C32296C
	buffer_load_dword v59, s[20:23], 0 offen lds               // 00000000CFE8: E0511000 8005003B
	s_add_u32 m0, 0, s48                                       // 00000000CFF0: 807C3080
	v_mfma_f32_16x16x32_fp8_fp8 v[12:15], a[110:111], a[22:23], v[12:15]// 00000000CFF4: D3F3000C 1C322D6E
	v_fma_f32 v112, v8, v6, v112                               // 00000000CFFC: D1CB0070 05C20D08
	v_fma_f32 v113, v9, v6, v113                               // 00000000D004: D1CB0071 05C60D09
	v_fma_f32 v114, v10, v6, v114                              // 00000000D00C: D1CB0072 05CA0D0A
	v_fma_f32 v115, v11, v6, v115                              // 00000000D014: D1CB0073 05CE0D0B
	v_mul_f32_dpp v4, v24, v38 row_newbcast:0 row_mask:0xf bank_mask:0xf// 00000000D01C: 0A084CFA FF015018
	v_mfma_f32_16x16x32_fp8_fp8 v[8:11], a[80:81], a[24:25], 0 // 00000000D024: D3F30008 1A023150
	buffer_load_dword v45, v30, s[28:31], 0 offen              // 00000000D02C: E0501000 80072D1E
	v_mfma_f32_16x16x32_fp8_fp8 v[8:11], a[82:83], a[26:27], v[8:11]// 00000000D034: D3F30008 1C223552
	v_mfma_f32_16x16x32_fp8_fp8 v[8:11], a[84:85], a[28:29], v[8:11]// 00000000D03C: D3F30008 1C223954
	buffer_load_dword v46, v31, s[28:31], 0 offen              // 00000000D044: E0501000 80072E1F
	v_mfma_f32_16x16x32_fp8_fp8 v[8:11], a[86:87], a[30:31], v[8:11]// 00000000D04C: D3F30008 1C223D56
	v_fma_f32 v132, v12, v6, v132                              // 00000000D054: D1CB0084 06120D0C
	v_fma_f32 v133, v13, v6, v133                              // 00000000D05C: D1CB0085 06160D0D
	v_fma_f32 v134, v14, v6, v134                              // 00000000D064: D1CB0086 061A0D0E
	v_fma_f32 v135, v15, v6, v135                              // 00000000D06C: D1CB0087 061E0D0F
	v_mfma_f32_16x16x32_fp8_fp8 v[12:15], a[88:89], a[24:25], 0// 00000000D074: D3F3000C 1A023158
	buffer_load_dword v47, v32, s[28:31], 0 offen              // 00000000D07C: E0501000 80072F20
	v_mfma_f32_16x16x32_fp8_fp8 v[12:15], a[90:91], a[26:27], v[12:15]// 00000000D084: D3F3000C 1C32355A
	v_mfma_f32_16x16x32_fp8_fp8 v[12:15], a[92:93], a[28:29], v[12:15]// 00000000D08C: D3F3000C 1C32395C
	buffer_load_dword v48, v33, s[28:31], 0 offen              // 00000000D094: E0501000 80073021
	v_mfma_f32_16x16x32_fp8_fp8 v[12:15], a[94:95], a[30:31], v[12:15]// 00000000D09C: D3F3000C 1C323D5E
	v_fma_f32 v76, v8, v4, v76                                 // 00000000D0A4: D1CB004C 05320908
	v_fma_f32 v77, v9, v4, v77                                 // 00000000D0AC: D1CB004D 05360909
	v_fma_f32 v78, v10, v4, v78                                // 00000000D0B4: D1CB004E 053A090A
	v_fma_f32 v79, v11, v4, v79                                // 00000000D0BC: D1CB004F 053E090B
	v_mul_f32_dpp v6, v24, v38 row_newbcast:1 row_mask:0xf bank_mask:0xf// 00000000D0C4: 0A0C4CFA FF015118
	v_mfma_f32_16x16x32_fp8_fp8 v[8:11], a[96:97], a[24:25], 0 // 00000000D0CC: D3F30008 1A023160
	buffer_load_dword v49, v34, s[28:31], 0 offen              // 00000000D0D4: E0501000 80073122
	v_mfma_f32_16x16x32_fp8_fp8 v[8:11], a[98:99], a[26:27], v[8:11]// 00000000D0DC: D3F30008 1C223562
	v_mfma_f32_16x16x32_fp8_fp8 v[8:11], a[100:101], a[28:29], v[8:11]// 00000000D0E4: D3F30008 1C223964
	v_mfma_f32_16x16x32_fp8_fp8 v[8:11], a[102:103], a[30:31], v[8:11]// 00000000D0EC: D3F30008 1C223D66
	v_fma_f32 v96, v12, v4, v96                                // 00000000D0F4: D1CB0060 0582090C
	v_fma_f32 v97, v13, v4, v97                                // 00000000D0FC: D1CB0061 0586090D
	v_fma_f32 v98, v14, v4, v98                                // 00000000D104: D1CB0062 058A090E
	v_fma_f32 v99, v15, v4, v99                                // 00000000D10C: D1CB0063 058E090F
	v_mfma_f32_16x16x32_fp8_fp8 v[12:15], a[104:105], a[24:25], 0// 00000000D114: D3F3000C 1A023168
	v_mfma_f32_16x16x32_fp8_fp8 v[12:15], a[106:107], a[26:27], v[12:15]// 00000000D11C: D3F3000C 1C32356A
	v_mfma_f32_16x16x32_fp8_fp8 v[12:15], a[108:109], a[28:29], v[12:15]// 00000000D124: D3F3000C 1C32396C
	v_mfma_f32_16x16x32_fp8_fp8 v[12:15], a[110:111], a[30:31], v[12:15]// 00000000D12C: D3F3000C 1C323D6E
	v_fma_f32 v116, v8, v6, v116                               // 00000000D134: D1CB0074 05D20D08
	v_fma_f32 v117, v9, v6, v117                               // 00000000D13C: D1CB0075 05D60D09
	v_fma_f32 v118, v10, v6, v118                              // 00000000D144: D1CB0076 05DA0D0A
	v_fma_f32 v119, v11, v6, v119                              // 00000000D14C: D1CB0077 05DE0D0B
	v_mul_f32_dpp v4, v24, v39 row_newbcast:0 row_mask:0xf bank_mask:0xf// 00000000D154: 0A084EFA FF015018
	v_mfma_f32_16x16x32_fp8_fp8 v[8:11], a[80:81], a[32:33], 0 // 00000000D15C: D3F30008 1A024150
	v_mfma_f32_16x16x32_fp8_fp8 v[8:11], a[82:83], a[34:35], v[8:11]// 00000000D164: D3F30008 1C224552
	v_mfma_f32_16x16x32_fp8_fp8 v[8:11], a[84:85], a[36:37], v[8:11]// 00000000D16C: D3F30008 1C224954
	v_mfma_f32_16x16x32_fp8_fp8 v[8:11], a[86:87], a[38:39], v[8:11]// 00000000D174: D3F30008 1C224D56
	v_fma_f32 v136, v12, v6, v136                              // 00000000D17C: D1CB0088 06220D0C
	v_fma_f32 v137, v13, v6, v137                              // 00000000D184: D1CB0089 06260D0D
	v_fma_f32 v138, v14, v6, v138                              // 00000000D18C: D1CB008A 062A0D0E
	v_fma_f32 v139, v15, v6, v139                              // 00000000D194: D1CB008B 062E0D0F
	v_mfma_f32_16x16x32_fp8_fp8 v[12:15], a[88:89], a[32:33], 0// 00000000D19C: D3F3000C 1A024158
	v_mfma_f32_16x16x32_fp8_fp8 v[12:15], a[90:91], a[34:35], v[12:15]// 00000000D1A4: D3F3000C 1C32455A
	v_mfma_f32_16x16x32_fp8_fp8 v[12:15], a[92:93], a[36:37], v[12:15]// 00000000D1AC: D3F3000C 1C32495C
	v_mfma_f32_16x16x32_fp8_fp8 v[12:15], a[94:95], a[38:39], v[12:15]// 00000000D1B4: D3F3000C 1C324D5E
	v_fma_f32 v80, v8, v4, v80                                 // 00000000D1BC: D1CB0050 05420908
	v_fma_f32 v81, v9, v4, v81                                 // 00000000D1C4: D1CB0051 05460909
	v_fma_f32 v82, v10, v4, v82                                // 00000000D1CC: D1CB0052 054A090A
	v_fma_f32 v83, v11, v4, v83                                // 00000000D1D4: D1CB0053 054E090B
	v_mul_f32_dpp v6, v24, v39 row_newbcast:1 row_mask:0xf bank_mask:0xf// 00000000D1DC: 0A0C4EFA FF015118
	v_mfma_f32_16x16x32_fp8_fp8 v[8:11], a[96:97], a[32:33], 0 // 00000000D1E4: D3F30008 1A024160
	v_mfma_f32_16x16x32_fp8_fp8 v[8:11], a[98:99], a[34:35], v[8:11]// 00000000D1EC: D3F30008 1C224562
	v_mfma_f32_16x16x32_fp8_fp8 v[8:11], a[100:101], a[36:37], v[8:11]// 00000000D1F4: D3F30008 1C224964
	v_mfma_f32_16x16x32_fp8_fp8 v[8:11], a[102:103], a[38:39], v[8:11]// 00000000D1FC: D3F30008 1C224D66
	v_fma_f32 v100, v12, v4, v100                              // 00000000D204: D1CB0064 0592090C
	v_fma_f32 v101, v13, v4, v101                              // 00000000D20C: D1CB0065 0596090D
	v_fma_f32 v102, v14, v4, v102                              // 00000000D214: D1CB0066 059A090E
	v_fma_f32 v103, v15, v4, v103                              // 00000000D21C: D1CB0067 059E090F
	v_mfma_f32_16x16x32_fp8_fp8 v[12:15], a[104:105], a[32:33], 0// 00000000D224: D3F3000C 1A024168
	v_mfma_f32_16x16x32_fp8_fp8 v[12:15], a[106:107], a[34:35], v[12:15]// 00000000D22C: D3F3000C 1C32456A
	v_mfma_f32_16x16x32_fp8_fp8 v[12:15], a[108:109], a[36:37], v[12:15]// 00000000D234: D3F3000C 1C32496C
	v_mfma_f32_16x16x32_fp8_fp8 v[12:15], a[110:111], a[38:39], v[12:15]// 00000000D23C: D3F3000C 1C324D6E
	v_fma_f32 v120, v8, v6, v120                               // 00000000D244: D1CB0078 05E20D08
	v_fma_f32 v121, v9, v6, v121                               // 00000000D24C: D1CB0079 05E60D09
	v_fma_f32 v122, v10, v6, v122                              // 00000000D254: D1CB007A 05EA0D0A
	v_fma_f32 v123, v11, v6, v123                              // 00000000D25C: D1CB007B 05EE0D0B
	v_fma_f32 v140, v12, v6, v140                              // 00000000D264: D1CB008C 06320D0C
	v_fma_f32 v141, v13, v6, v141                              // 00000000D26C: D1CB008D 06360D0D
	v_fma_f32 v142, v14, v6, v142                              // 00000000D274: D1CB008E 063A0D0E
	v_fma_f32 v143, v15, v6, v143                              // 00000000D27C: D1CB008F 063E0D0F
	s_waitcnt vmcnt(24)                                        // 00000000D284: BF8C4F78
	s_barrier                                                  // 00000000D288: BF8A0000
	v_mul_f32_dpp v4, v27, v35 row_newbcast:0 row_mask:0xf bank_mask:0xf// 00000000D28C: 0A0846FA FF01501B
	v_mfma_f32_16x16x32_fp8_fp8 v[8:11], a[112:113], a[0:1], 0 // 00000000D294: D3F30008 1A020170
	buffer_load_dword v28, v23, s[32:35], 0 offen              // 00000000D29C: E0501000 80081C17
	buffer_load_dwordx4 a[80:83], v60, s[84:87], 0 offen       // 00000000D2A4: E05C1000 8095503C
	v_mfma_f32_16x16x32_fp8_fp8 v[8:11], a[114:115], a[2:3], v[8:11]// 00000000D2AC: D3F30008 1C220572
	v_mfma_f32_16x16x32_fp8_fp8 v[8:11], a[116:117], a[4:5], v[8:11]// 00000000D2B4: D3F30008 1C220974
	ds_read_b128 a[40:43], v2 offset:10368                     // 00000000D2BC: DBFE2880 28000002
	ds_read_b128 a[44:47], v2 offset:10432                     // 00000000D2C4: DBFE28C0 2C000002
	v_mfma_f32_16x16x32_fp8_fp8 v[8:11], a[118:119], a[6:7], v[8:11]// 00000000D2CC: D3F30008 1C220D76
	v_mfma_f32_16x16x32_fp8_fp8 v[12:15], a[120:121], a[0:1], 0// 00000000D2D4: D3F3000C 1A020178
	buffer_load_dwordx4 a[84:87], v60, s[84:87], 0 offen offset:1024// 00000000D2DC: E05C1400 8095543C
	v_mfma_f32_16x16x32_fp8_fp8 v[12:15], a[122:123], a[2:3], v[12:15]// 00000000D2E4: D3F3000C 1C32057A
	v_mfma_f32_16x16x32_fp8_fp8 v[12:15], a[124:125], a[4:5], v[12:15]// 00000000D2EC: D3F3000C 1C32097C
	ds_read_b128 a[48:51], v2 offset:10880                     // 00000000D2F4: DBFE2A80 30000002
	ds_read_b128 a[52:55], v2 offset:10944                     // 00000000D2FC: DBFE2AC0 34000002
	v_mfma_f32_16x16x32_fp8_fp8 v[12:15], a[126:127], a[6:7], v[12:15]// 00000000D304: D3F3000C 1C320D7E
	v_fma_f32 v144, v8, v4, v144                               // 00000000D30C: D1CB0090 06420908
	v_fma_f32 v145, v9, v4, v145                               // 00000000D314: D1CB0091 06460909
	v_fma_f32 v146, v10, v4, v146                              // 00000000D31C: D1CB0092 064A090A
	v_fma_f32 v147, v11, v4, v147                              // 00000000D324: D1CB0093 064E090B
	v_mul_f32_dpp v6, v27, v35 row_newbcast:1 row_mask:0xf bank_mask:0xf// 00000000D32C: 0A0C46FA FF01511B
	v_mfma_f32_16x16x32_fp8_fp8 v[8:11], a[128:129], a[0:1], 0 // 00000000D334: D3F30008 1A020180
	buffer_load_dwordx4 a[88:91], v61, s[84:87], 0 offen       // 00000000D33C: E05C1000 8095583D
	v_mfma_f32_16x16x32_fp8_fp8 v[8:11], a[130:131], a[2:3], v[8:11]// 00000000D344: D3F30008 1C220582
	v_mfma_f32_16x16x32_fp8_fp8 v[8:11], a[132:133], a[4:5], v[8:11]// 00000000D34C: D3F30008 1C220984
	ds_read_b128 a[56:59], v2 offset:11392                     // 00000000D354: DBFE2C80 38000002
	ds_read_b128 a[60:63], v2 offset:11456                     // 00000000D35C: DBFE2CC0 3C000002
	v_mfma_f32_16x16x32_fp8_fp8 v[8:11], a[134:135], a[6:7], v[8:11]// 00000000D364: D3F30008 1C220D86
	v_fma_f32 v164, v12, v4, v164                              // 00000000D36C: D1CB00A4 0692090C
	v_fma_f32 v165, v13, v4, v165                              // 00000000D374: D1CB00A5 0696090D
	v_fma_f32 v166, v14, v4, v166                              // 00000000D37C: D1CB00A6 069A090E
	v_fma_f32 v167, v15, v4, v167                              // 00000000D384: D1CB00A7 069E090F
	v_mfma_f32_16x16x32_fp8_fp8 v[12:15], a[136:137], a[0:1], 0// 00000000D38C: D3F3000C 1A020188
	buffer_load_dwordx4 a[92:95], v61, s[84:87], 0 offen offset:1024// 00000000D394: E05C1400 80955C3D
	v_mfma_f32_16x16x32_fp8_fp8 v[12:15], a[138:139], a[2:3], v[12:15]// 00000000D39C: D3F3000C 1C32058A
	v_mfma_f32_16x16x32_fp8_fp8 v[12:15], a[140:141], a[4:5], v[12:15]// 00000000D3A4: D3F3000C 1C32098C
	ds_read_b128 a[64:67], v2 offset:11904                     // 00000000D3AC: DBFE2E80 40000002
	ds_read_b128 a[68:71], v2 offset:11968                     // 00000000D3B4: DBFE2EC0 44000002
	v_mfma_f32_16x16x32_fp8_fp8 v[12:15], a[142:143], a[6:7], v[12:15]// 00000000D3BC: D3F3000C 1C320D8E
	v_fma_f32 v184, v8, v6, v184                               // 00000000D3C4: D1CB00B8 06E20D08
	v_fma_f32 v185, v9, v6, v185                               // 00000000D3CC: D1CB00B9 06E60D09
	v_fma_f32 v186, v10, v6, v186                              // 00000000D3D4: D1CB00BA 06EA0D0A
	v_fma_f32 v187, v11, v6, v187                              // 00000000D3DC: D1CB00BB 06EE0D0B
	v_mul_f32_dpp v4, v27, v36 row_newbcast:0 row_mask:0xf bank_mask:0xf// 00000000D3E4: 0A0848FA FF01501B
	v_mfma_f32_16x16x32_fp8_fp8 v[8:11], a[112:113], a[8:9], 0 // 00000000D3EC: D3F30008 1A021170
	buffer_load_dwordx4 a[96:99], v62, s[84:87], 0 offen       // 00000000D3F4: E05C1000 8095603E
	v_mfma_f32_16x16x32_fp8_fp8 v[8:11], a[114:115], a[10:11], v[8:11]// 00000000D3FC: D3F30008 1C221572
	v_mfma_f32_16x16x32_fp8_fp8 v[8:11], a[116:117], a[12:13], v[8:11]// 00000000D404: D3F30008 1C221974
	ds_read_b128 a[72:75], v2 offset:12416                     // 00000000D40C: DBFE3080 48000002
	ds_read_b128 a[76:79], v2 offset:12480                     // 00000000D414: DBFE30C0 4C000002
	v_mfma_f32_16x16x32_fp8_fp8 v[8:11], a[118:119], a[14:15], v[8:11]// 00000000D41C: D3F30008 1C221D76
	v_fma_f32 v204, v12, v6, v204                              // 00000000D424: D1CB00CC 07320D0C
	v_fma_f32 v205, v13, v6, v205                              // 00000000D42C: D1CB00CD 07360D0D
	v_fma_f32 v206, v14, v6, v206                              // 00000000D434: D1CB00CE 073A0D0E
	v_fma_f32 v207, v15, v6, v207                              // 00000000D43C: D1CB00CF 073E0D0F
	v_mfma_f32_16x16x32_fp8_fp8 v[12:15], a[120:121], a[8:9], 0// 00000000D444: D3F3000C 1A021178
	buffer_load_dwordx4 a[100:103], v62, s[84:87], 0 offen offset:1024// 00000000D44C: E05C1400 8095643E
	v_mfma_f32_16x16x32_fp8_fp8 v[12:15], a[122:123], a[10:11], v[12:15]// 00000000D454: D3F3000C 1C32157A
	v_mfma_f32_16x16x32_fp8_fp8 v[12:15], a[124:125], a[12:13], v[12:15]// 00000000D45C: D3F3000C 1C32197C
	v_mfma_f32_16x16x32_fp8_fp8 v[12:15], a[126:127], a[14:15], v[12:15]// 00000000D464: D3F3000C 1C321D7E
	v_fma_f32 v148, v8, v4, v148                               // 00000000D46C: D1CB0094 06520908
	v_fma_f32 v149, v9, v4, v149                               // 00000000D474: D1CB0095 06560909
	v_fma_f32 v150, v10, v4, v150                              // 00000000D47C: D1CB0096 065A090A
	v_fma_f32 v151, v11, v4, v151                              // 00000000D484: D1CB0097 065E090B
	v_mul_f32_dpp v6, v27, v36 row_newbcast:1 row_mask:0xf bank_mask:0xf// 00000000D48C: 0A0C48FA FF01511B
	v_mfma_f32_16x16x32_fp8_fp8 v[8:11], a[128:129], a[8:9], 0 // 00000000D494: D3F30008 1A021180
	buffer_load_dwordx4 a[104:107], v63, s[84:87], 0 offen     // 00000000D49C: E05C1000 8095683F
	v_mfma_f32_16x16x32_fp8_fp8 v[8:11], a[130:131], a[10:11], v[8:11]// 00000000D4A4: D3F30008 1C221582
	v_mfma_f32_16x16x32_fp8_fp8 v[8:11], a[132:133], a[12:13], v[8:11]// 00000000D4AC: D3F30008 1C221984
	v_mfma_f32_16x16x32_fp8_fp8 v[8:11], a[134:135], a[14:15], v[8:11]// 00000000D4B4: D3F30008 1C221D86
	v_fma_f32 v168, v12, v4, v168                              // 00000000D4BC: D1CB00A8 06A2090C
	v_fma_f32 v169, v13, v4, v169                              // 00000000D4C4: D1CB00A9 06A6090D
	v_fma_f32 v170, v14, v4, v170                              // 00000000D4CC: D1CB00AA 06AA090E
	v_fma_f32 v171, v15, v4, v171                              // 00000000D4D4: D1CB00AB 06AE090F
	v_mfma_f32_16x16x32_fp8_fp8 v[12:15], a[136:137], a[8:9], 0// 00000000D4DC: D3F3000C 1A021188
	buffer_load_dwordx4 a[108:111], v63, s[84:87], 0 offen offset:1024// 00000000D4E4: E05C1400 80956C3F
	v_mfma_f32_16x16x32_fp8_fp8 v[12:15], a[138:139], a[10:11], v[12:15]// 00000000D4EC: D3F3000C 1C32158A
	v_mfma_f32_16x16x32_fp8_fp8 v[12:15], a[140:141], a[12:13], v[12:15]// 00000000D4F4: D3F3000C 1C32198C
	v_mfma_f32_16x16x32_fp8_fp8 v[12:15], a[142:143], a[14:15], v[12:15]// 00000000D4FC: D3F3000C 1C321D8E
	v_fma_f32 v188, v8, v6, v188                               // 00000000D504: D1CB00BC 06F20D08
	v_fma_f32 v189, v9, v6, v189                               // 00000000D50C: D1CB00BD 06F60D09
	v_fma_f32 v190, v10, v6, v190                              // 00000000D514: D1CB00BE 06FA0D0A
	v_fma_f32 v191, v11, v6, v191                              // 00000000D51C: D1CB00BF 06FE0D0B
	v_mul_f32_dpp v4, v27, v37 row_newbcast:0 row_mask:0xf bank_mask:0xf// 00000000D524: 0A084AFA FF01501B
	v_mfma_f32_16x16x32_fp8_fp8 v[8:11], a[112:113], a[16:17], 0// 00000000D52C: D3F30008 1A022170
	v_mfma_f32_16x16x32_fp8_fp8 v[8:11], a[114:115], a[18:19], v[8:11]// 00000000D534: D3F30008 1C222572
	v_mfma_f32_16x16x32_fp8_fp8 v[8:11], a[116:117], a[20:21], v[8:11]// 00000000D53C: D3F30008 1C222974
	v_mfma_f32_16x16x32_fp8_fp8 v[8:11], a[118:119], a[22:23], v[8:11]// 00000000D544: D3F30008 1C222D76
	v_fma_f32 v208, v12, v6, v208                              // 00000000D54C: D1CB00D0 07420D0C
	v_fma_f32 v209, v13, v6, v209                              // 00000000D554: D1CB00D1 07460D0D
	v_fma_f32 v210, v14, v6, v210                              // 00000000D55C: D1CB00D2 074A0D0E
	v_fma_f32 v211, v15, v6, v211                              // 00000000D564: D1CB00D3 074E0D0F
	v_mfma_f32_16x16x32_fp8_fp8 v[12:15], a[120:121], a[16:17], 0// 00000000D56C: D3F3000C 1A022178
	v_mfma_f32_16x16x32_fp8_fp8 v[12:15], a[122:123], a[18:19], v[12:15]// 00000000D574: D3F3000C 1C32257A
	v_mfma_f32_16x16x32_fp8_fp8 v[12:15], a[124:125], a[20:21], v[12:15]// 00000000D57C: D3F3000C 1C32297C
	v_mfma_f32_16x16x32_fp8_fp8 v[12:15], a[126:127], a[22:23], v[12:15]// 00000000D584: D3F3000C 1C322D7E
	v_fma_f32 v152, v8, v4, v152                               // 00000000D58C: D1CB0098 06620908
	v_fma_f32 v153, v9, v4, v153                               // 00000000D594: D1CB0099 06660909
	v_fma_f32 v154, v10, v4, v154                              // 00000000D59C: D1CB009A 066A090A
	v_fma_f32 v155, v11, v4, v155                              // 00000000D5A4: D1CB009B 066E090B
	v_mul_f32_dpp v6, v27, v37 row_newbcast:1 row_mask:0xf bank_mask:0xf// 00000000D5AC: 0A0C4AFA FF01511B
	v_mfma_f32_16x16x32_fp8_fp8 v[8:11], a[128:129], a[16:17], 0// 00000000D5B4: D3F30008 1A022180
	v_mfma_f32_16x16x32_fp8_fp8 v[8:11], a[130:131], a[18:19], v[8:11]// 00000000D5BC: D3F30008 1C222582
	v_mfma_f32_16x16x32_fp8_fp8 v[8:11], a[132:133], a[20:21], v[8:11]// 00000000D5C4: D3F30008 1C222984
	v_mfma_f32_16x16x32_fp8_fp8 v[8:11], a[134:135], a[22:23], v[8:11]// 00000000D5CC: D3F30008 1C222D86
	v_fma_f32 v172, v12, v4, v172                              // 00000000D5D4: D1CB00AC 06B2090C
	v_fma_f32 v173, v13, v4, v173                              // 00000000D5DC: D1CB00AD 06B6090D
	v_fma_f32 v174, v14, v4, v174                              // 00000000D5E4: D1CB00AE 06BA090E
	v_fma_f32 v175, v15, v4, v175                              // 00000000D5EC: D1CB00AF 06BE090F
	v_mfma_f32_16x16x32_fp8_fp8 v[12:15], a[136:137], a[16:17], 0// 00000000D5F4: D3F3000C 1A022188
	v_mfma_f32_16x16x32_fp8_fp8 v[12:15], a[138:139], a[18:19], v[12:15]// 00000000D5FC: D3F3000C 1C32258A
	v_mfma_f32_16x16x32_fp8_fp8 v[12:15], a[140:141], a[20:21], v[12:15]// 00000000D604: D3F3000C 1C32298C
	v_mfma_f32_16x16x32_fp8_fp8 v[12:15], a[142:143], a[22:23], v[12:15]// 00000000D60C: D3F3000C 1C322D8E
	v_fma_f32 v192, v8, v6, v192                               // 00000000D614: D1CB00C0 07020D08
	v_fma_f32 v193, v9, v6, v193                               // 00000000D61C: D1CB00C1 07060D09
	v_fma_f32 v194, v10, v6, v194                              // 00000000D624: D1CB00C2 070A0D0A
	v_fma_f32 v195, v11, v6, v195                              // 00000000D62C: D1CB00C3 070E0D0B
	v_mul_f32_dpp v4, v27, v38 row_newbcast:0 row_mask:0xf bank_mask:0xf// 00000000D634: 0A084CFA FF01501B
	v_mfma_f32_16x16x32_fp8_fp8 v[8:11], a[112:113], a[24:25], 0// 00000000D63C: D3F30008 1A023170
	v_mfma_f32_16x16x32_fp8_fp8 v[8:11], a[114:115], a[26:27], v[8:11]// 00000000D644: D3F30008 1C223572
	v_mfma_f32_16x16x32_fp8_fp8 v[8:11], a[116:117], a[28:29], v[8:11]// 00000000D64C: D3F30008 1C223974
	v_mfma_f32_16x16x32_fp8_fp8 v[8:11], a[118:119], a[30:31], v[8:11]// 00000000D654: D3F30008 1C223D76
	v_fma_f32 v212, v12, v6, v212                              // 00000000D65C: D1CB00D4 07520D0C
	v_fma_f32 v213, v13, v6, v213                              // 00000000D664: D1CB00D5 07560D0D
	v_fma_f32 v214, v14, v6, v214                              // 00000000D66C: D1CB00D6 075A0D0E
	v_fma_f32 v215, v15, v6, v215                              // 00000000D674: D1CB00D7 075E0D0F
	v_mfma_f32_16x16x32_fp8_fp8 v[12:15], a[120:121], a[24:25], 0// 00000000D67C: D3F3000C 1A023178
	v_mfma_f32_16x16x32_fp8_fp8 v[12:15], a[122:123], a[26:27], v[12:15]// 00000000D684: D3F3000C 1C32357A
	v_mfma_f32_16x16x32_fp8_fp8 v[12:15], a[124:125], a[28:29], v[12:15]// 00000000D68C: D3F3000C 1C32397C
	v_mfma_f32_16x16x32_fp8_fp8 v[12:15], a[126:127], a[30:31], v[12:15]// 00000000D694: D3F3000C 1C323D7E
	v_fma_f32 v156, v8, v4, v156                               // 00000000D69C: D1CB009C 06720908
	v_fma_f32 v157, v9, v4, v157                               // 00000000D6A4: D1CB009D 06760909
	v_fma_f32 v158, v10, v4, v158                              // 00000000D6AC: D1CB009E 067A090A
	v_fma_f32 v159, v11, v4, v159                              // 00000000D6B4: D1CB009F 067E090B
	v_mul_f32_dpp v6, v27, v38 row_newbcast:1 row_mask:0xf bank_mask:0xf// 00000000D6BC: 0A0C4CFA FF01511B
	v_mfma_f32_16x16x32_fp8_fp8 v[8:11], a[128:129], a[24:25], 0// 00000000D6C4: D3F30008 1A023180
	v_mfma_f32_16x16x32_fp8_fp8 v[8:11], a[130:131], a[26:27], v[8:11]// 00000000D6CC: D3F30008 1C223582
	v_mfma_f32_16x16x32_fp8_fp8 v[8:11], a[132:133], a[28:29], v[8:11]// 00000000D6D4: D3F30008 1C223984
	v_mfma_f32_16x16x32_fp8_fp8 v[8:11], a[134:135], a[30:31], v[8:11]// 00000000D6DC: D3F30008 1C223D86
	v_fma_f32 v176, v12, v4, v176                              // 00000000D6E4: D1CB00B0 06C2090C
	v_fma_f32 v177, v13, v4, v177                              // 00000000D6EC: D1CB00B1 06C6090D
	v_fma_f32 v178, v14, v4, v178                              // 00000000D6F4: D1CB00B2 06CA090E
	v_fma_f32 v179, v15, v4, v179                              // 00000000D6FC: D1CB00B3 06CE090F
	v_mfma_f32_16x16x32_fp8_fp8 v[12:15], a[136:137], a[24:25], 0// 00000000D704: D3F3000C 1A023188
	v_mfma_f32_16x16x32_fp8_fp8 v[12:15], a[138:139], a[26:27], v[12:15]// 00000000D70C: D3F3000C 1C32358A
	v_mfma_f32_16x16x32_fp8_fp8 v[12:15], a[140:141], a[28:29], v[12:15]// 00000000D714: D3F3000C 1C32398C
	v_mfma_f32_16x16x32_fp8_fp8 v[12:15], a[142:143], a[30:31], v[12:15]// 00000000D71C: D3F3000C 1C323D8E
	v_fma_f32 v196, v8, v6, v196                               // 00000000D724: D1CB00C4 07120D08
	v_fma_f32 v197, v9, v6, v197                               // 00000000D72C: D1CB00C5 07160D09
	v_fma_f32 v198, v10, v6, v198                              // 00000000D734: D1CB00C6 071A0D0A
	v_fma_f32 v199, v11, v6, v199                              // 00000000D73C: D1CB00C7 071E0D0B
	v_mul_f32_dpp v4, v27, v39 row_newbcast:0 row_mask:0xf bank_mask:0xf// 00000000D744: 0A084EFA FF01501B
	v_mfma_f32_16x16x32_fp8_fp8 v[8:11], a[112:113], a[32:33], 0// 00000000D74C: D3F30008 1A024170
	v_mfma_f32_16x16x32_fp8_fp8 v[8:11], a[114:115], a[34:35], v[8:11]// 00000000D754: D3F30008 1C224572
	v_mfma_f32_16x16x32_fp8_fp8 v[8:11], a[116:117], a[36:37], v[8:11]// 00000000D75C: D3F30008 1C224974
	v_mfma_f32_16x16x32_fp8_fp8 v[8:11], a[118:119], a[38:39], v[8:11]// 00000000D764: D3F30008 1C224D76
	v_fma_f32 v216, v12, v6, v216                              // 00000000D76C: D1CB00D8 07620D0C
	v_fma_f32 v217, v13, v6, v217                              // 00000000D774: D1CB00D9 07660D0D
	v_fma_f32 v218, v14, v6, v218                              // 00000000D77C: D1CB00DA 076A0D0E
	v_fma_f32 v219, v15, v6, v219                              // 00000000D784: D1CB00DB 076E0D0F
	v_mfma_f32_16x16x32_fp8_fp8 v[12:15], a[120:121], a[32:33], 0// 00000000D78C: D3F3000C 1A024178
	v_mfma_f32_16x16x32_fp8_fp8 v[12:15], a[122:123], a[34:35], v[12:15]// 00000000D794: D3F3000C 1C32457A
	v_mfma_f32_16x16x32_fp8_fp8 v[12:15], a[124:125], a[36:37], v[12:15]// 00000000D79C: D3F3000C 1C32497C
	v_mfma_f32_16x16x32_fp8_fp8 v[12:15], a[126:127], a[38:39], v[12:15]// 00000000D7A4: D3F3000C 1C324D7E
	v_fma_f32 v160, v8, v4, v160                               // 00000000D7AC: D1CB00A0 06820908
	v_fma_f32 v161, v9, v4, v161                               // 00000000D7B4: D1CB00A1 06860909
	v_fma_f32 v162, v10, v4, v162                              // 00000000D7BC: D1CB00A2 068A090A
	v_fma_f32 v163, v11, v4, v163                              // 00000000D7C4: D1CB00A3 068E090B
	v_mul_f32_dpp v6, v27, v39 row_newbcast:1 row_mask:0xf bank_mask:0xf// 00000000D7CC: 0A0C4EFA FF01511B
	v_mfma_f32_16x16x32_fp8_fp8 v[8:11], a[128:129], a[32:33], 0// 00000000D7D4: D3F30008 1A024180
	s_add_u32 s60, 0x180, s80                                  // 00000000D7DC: 803C50FF 00000180
	s_cmp_lt_u32 s60, s81                                      // 00000000D7E4: BF0A513C
	s_cselect_b32 s57, s57, 0                                  // 00000000D7E8: 85398039
	s_cselect_b32 s3, s3, 0                                    // 00000000D7EC: 85038003
	v_mfma_f32_16x16x32_fp8_fp8 v[8:11], a[130:131], a[34:35], v[8:11]// 00000000D7F0: D3F30008 1C224582
	s_add_u32 s60, 0x100, s80                                  // 00000000D7F8: 803C50FF 00000100
	s_cmp_lt_u32 s60, s81                                      // 00000000D800: BF0A513C
	s_cselect_b32 s58, s58, 0                                  // 00000000D804: 853A803A
	v_mfma_f32_16x16x32_fp8_fp8 v[8:11], a[132:133], a[36:37], v[8:11]// 00000000D808: D3F30008 1C224984
	s_add_u32 s60, 0x100, s80                                  // 00000000D810: 803C50FF 00000100
	s_cmp_lt_u32 s60, s81                                      // 00000000D818: BF0A513C
	s_cselect_b32 s83, s83, 0                                  // 00000000D81C: 85538053
	s_cselect_b32 s4, s4, 0                                    // 00000000D820: 85048004
	v_mfma_f32_16x16x32_fp8_fp8 v[8:11], a[134:135], a[38:39], v[8:11]// 00000000D824: D3F30008 1C224D86
	s_add_u32 s24, s58, s24                                    // 00000000D82C: 8018183A
	s_addc_u32 s25, 0, s25                                     // 00000000D830: 82191980
	v_fma_f32 v180, v12, v4, v180                              // 00000000D834: D1CB00B4 06D2090C
	v_fma_f32 v181, v13, v4, v181                              // 00000000D83C: D1CB00B5 06D6090D
	v_fma_f32 v182, v14, v4, v182                              // 00000000D844: D1CB00B6 06DA090E
	v_fma_f32 v183, v15, v4, v183                              // 00000000D84C: D1CB00B7 06DE090F
	v_mfma_f32_16x16x32_fp8_fp8 v[12:15], a[136:137], a[32:33], 0// 00000000D854: D3F3000C 1A024188
	s_add_u32 s20, s57, s20                                    // 00000000D85C: 80141439
	s_addc_u32 s21, 0, s21                                     // 00000000D860: 82151580
	s_add_u32 s28, s3, s28                                     // 00000000D864: 801C1C03
	s_addc_u32 s29, 0, s29                                     // 00000000D868: 821D1D80
	v_mfma_f32_16x16x32_fp8_fp8 v[12:15], a[138:139], a[34:35], v[12:15]// 00000000D86C: D3F3000C 1C32458A
	s_add_u32 s84, s83, s84                                    // 00000000D874: 80545453
	s_addc_u32 s85, 0, s85                                     // 00000000D878: 82555580
	v_mfma_f32_16x16x32_fp8_fp8 v[12:15], a[140:141], a[36:37], v[12:15]// 00000000D87C: D3F3000C 1C32498C
	s_add_u32 s32, s4, s32                                     // 00000000D884: 80202004
	s_addc_u32 s33, 0, s33                                     // 00000000D888: 82212180
	v_mfma_f32_16x16x32_fp8_fp8 v[12:15], a[142:143], a[38:39], v[12:15]// 00000000D88C: D3F3000C 1C324D8E
	v_fma_f32 v200, v8, v6, v200                               // 00000000D894: D1CB00C8 07220D08
	v_fma_f32 v201, v9, v6, v201                               // 00000000D89C: D1CB00C9 07260D09
	v_fma_f32 v202, v10, v6, v202                              // 00000000D8A4: D1CB00CA 072A0D0A
	v_fma_f32 v203, v11, v6, v203                              // 00000000D8AC: D1CB00CB 072E0D0B
	v_fma_f32 v220, v12, v6, v220                              // 00000000D8B4: D1CB00DC 07720D0C
	v_fma_f32 v221, v13, v6, v221                              // 00000000D8BC: D1CB00DD 07760D0D
	v_fma_f32 v222, v14, v6, v222                              // 00000000D8C4: D1CB00DE 077A0D0E
	v_fma_f32 v223, v15, v6, v223                              // 00000000D8CC: D1CB00DF 077E0D0F
	s_addk_i32 s80, 0x80                                       // 00000000D8D4: B7500080
	s_cmp_lt_i32 s80, s81                                      // 00000000D8D8: BF045150
	s_cbranch_scc0 label_3BA7                                  // 00000000D8DC: BF840FEC
	s_waitcnt vmcnt(24) lgkmcnt(0)                             // 00000000D8E0: BF8C4078
	v_mul_f32_dpp v4, v25, v40 row_newbcast:0 row_mask:0xf bank_mask:0xf// 00000000D8E4: 0A0850FA FF015019
	v_mfma_f32_16x16x32_fp8_fp8 v[8:11], a[144:145], a[40:41], 0// 00000000D8EC: D3F30008 1A025190
	buffer_load_dword v26, v22, s[32:35], 0 offen              // 00000000D8F4: E0501000 80081A16
	buffer_load_dwordx4 a[112:115], v60, s[24:27], 0 offen     // 00000000D8FC: E05C1000 8086703C
	v_mfma_f32_16x16x32_fp8_fp8 v[8:11], a[146:147], a[42:43], v[8:11]// 00000000D904: D3F30008 1C225592
	v_mfma_f32_16x16x32_fp8_fp8 v[8:11], a[148:149], a[44:45], v[8:11]// 00000000D90C: D3F30008 1C225994
	v_mfma_f32_16x16x32_fp8_fp8 v[8:11], a[150:151], a[46:47], v[8:11]// 00000000D914: D3F30008 1C225D96
	v_mfma_f32_16x16x32_fp8_fp8 v[12:15], a[152:153], a[40:41], 0// 00000000D91C: D3F3000C 1A025198
	buffer_load_dwordx4 a[116:119], v60, s[24:27], 0 offen offset:1024// 00000000D924: E05C1400 8086743C
	v_mfma_f32_16x16x32_fp8_fp8 v[12:15], a[154:155], a[42:43], v[12:15]// 00000000D92C: D3F3000C 1C32559A
	v_mfma_f32_16x16x32_fp8_fp8 v[12:15], a[156:157], a[44:45], v[12:15]// 00000000D934: D3F3000C 1C32599C
	v_mfma_f32_16x16x32_fp8_fp8 v[12:15], a[158:159], a[46:47], v[12:15]// 00000000D93C: D3F3000C 1C325D9E
	v_fma_f32 v64, v8, v4, v64                                 // 00000000D944: D1CB0040 05020908
	v_fma_f32 v65, v9, v4, v65                                 // 00000000D94C: D1CB0041 05060909
	v_fma_f32 v66, v10, v4, v66                                // 00000000D954: D1CB0042 050A090A
	v_fma_f32 v67, v11, v4, v67                                // 00000000D95C: D1CB0043 050E090B
	v_mul_f32_dpp v6, v25, v40 row_newbcast:1 row_mask:0xf bank_mask:0xf// 00000000D964: 0A0C50FA FF015119
	v_mfma_f32_16x16x32_fp8_fp8 v[8:11], a[160:161], a[40:41], 0// 00000000D96C: D3F30008 1A0251A0
	buffer_load_dwordx4 a[120:123], v61, s[24:27], 0 offen     // 00000000D974: E05C1000 8086783D
	v_mfma_f32_16x16x32_fp8_fp8 v[8:11], a[162:163], a[42:43], v[8:11]// 00000000D97C: D3F30008 1C2255A2
	v_mfma_f32_16x16x32_fp8_fp8 v[8:11], a[164:165], a[44:45], v[8:11]// 00000000D984: D3F30008 1C2259A4
	v_mfma_f32_16x16x32_fp8_fp8 v[8:11], a[166:167], a[46:47], v[8:11]// 00000000D98C: D3F30008 1C225DA6
	v_fma_f32 v84, v12, v4, v84                                // 00000000D994: D1CB0054 0552090C
	v_fma_f32 v85, v13, v4, v85                                // 00000000D99C: D1CB0055 0556090D
	v_fma_f32 v86, v14, v4, v86                                // 00000000D9A4: D1CB0056 055A090E
	v_fma_f32 v87, v15, v4, v87                                // 00000000D9AC: D1CB0057 055E090F
	v_mfma_f32_16x16x32_fp8_fp8 v[12:15], a[168:169], a[40:41], 0// 00000000D9B4: D3F3000C 1A0251A8
	buffer_load_dwordx4 a[124:127], v61, s[24:27], 0 offen offset:1024// 00000000D9BC: E05C1400 80867C3D
	v_mfma_f32_16x16x32_fp8_fp8 v[12:15], a[170:171], a[42:43], v[12:15]// 00000000D9C4: D3F3000C 1C3255AA
	v_mfma_f32_16x16x32_fp8_fp8 v[12:15], a[172:173], a[44:45], v[12:15]// 00000000D9CC: D3F3000C 1C3259AC
	v_mfma_f32_16x16x32_fp8_fp8 v[12:15], a[174:175], a[46:47], v[12:15]// 00000000D9D4: D3F3000C 1C325DAE
	v_fma_f32 v104, v8, v6, v104                               // 00000000D9DC: D1CB0068 05A20D08
	v_fma_f32 v105, v9, v6, v105                               // 00000000D9E4: D1CB0069 05A60D09
	v_fma_f32 v106, v10, v6, v106                              // 00000000D9EC: D1CB006A 05AA0D0A
	v_fma_f32 v107, v11, v6, v107                              // 00000000D9F4: D1CB006B 05AE0D0B
	v_mul_f32_dpp v4, v25, v41 row_newbcast:0 row_mask:0xf bank_mask:0xf// 00000000D9FC: 0A0852FA FF015019
	v_mfma_f32_16x16x32_fp8_fp8 v[8:11], a[144:145], a[48:49], 0// 00000000DA04: D3F30008 1A026190
	buffer_load_dwordx4 a[128:131], v62, s[24:27], 0 offen     // 00000000DA0C: E05C1000 8086803E
	v_mfma_f32_16x16x32_fp8_fp8 v[8:11], a[146:147], a[50:51], v[8:11]// 00000000DA14: D3F30008 1C226592
	v_mfma_f32_16x16x32_fp8_fp8 v[8:11], a[148:149], a[52:53], v[8:11]// 00000000DA1C: D3F30008 1C226994
	v_mfma_f32_16x16x32_fp8_fp8 v[8:11], a[150:151], a[54:55], v[8:11]// 00000000DA24: D3F30008 1C226D96
	v_fma_f32 v124, v12, v6, v124                              // 00000000DA2C: D1CB007C 05F20D0C
	v_fma_f32 v125, v13, v6, v125                              // 00000000DA34: D1CB007D 05F60D0D
	v_fma_f32 v126, v14, v6, v126                              // 00000000DA3C: D1CB007E 05FA0D0E
	v_fma_f32 v127, v15, v6, v127                              // 00000000DA44: D1CB007F 05FE0D0F
	v_mfma_f32_16x16x32_fp8_fp8 v[12:15], a[152:153], a[48:49], 0// 00000000DA4C: D3F3000C 1A026198
	buffer_load_dwordx4 a[132:135], v62, s[24:27], 0 offen offset:1024// 00000000DA54: E05C1400 8086843E
	v_mfma_f32_16x16x32_fp8_fp8 v[12:15], a[154:155], a[50:51], v[12:15]// 00000000DA5C: D3F3000C 1C32659A
	v_mfma_f32_16x16x32_fp8_fp8 v[12:15], a[156:157], a[52:53], v[12:15]// 00000000DA64: D3F3000C 1C32699C
	v_mfma_f32_16x16x32_fp8_fp8 v[12:15], a[158:159], a[54:55], v[12:15]// 00000000DA6C: D3F3000C 1C326D9E
	v_fma_f32 v68, v8, v4, v68                                 // 00000000DA74: D1CB0044 05120908
	v_fma_f32 v69, v9, v4, v69                                 // 00000000DA7C: D1CB0045 05160909
	v_fma_f32 v70, v10, v4, v70                                // 00000000DA84: D1CB0046 051A090A
	v_fma_f32 v71, v11, v4, v71                                // 00000000DA8C: D1CB0047 051E090B
	v_mul_f32_dpp v6, v25, v41 row_newbcast:1 row_mask:0xf bank_mask:0xf// 00000000DA94: 0A0C52FA FF015119
	v_mfma_f32_16x16x32_fp8_fp8 v[8:11], a[160:161], a[48:49], 0// 00000000DA9C: D3F30008 1A0261A0
	buffer_load_dwordx4 a[136:139], v63, s[24:27], 0 offen     // 00000000DAA4: E05C1000 8086883F
	v_mfma_f32_16x16x32_fp8_fp8 v[8:11], a[162:163], a[50:51], v[8:11]// 00000000DAAC: D3F30008 1C2265A2
	v_mfma_f32_16x16x32_fp8_fp8 v[8:11], a[164:165], a[52:53], v[8:11]// 00000000DAB4: D3F30008 1C2269A4
	v_mfma_f32_16x16x32_fp8_fp8 v[8:11], a[166:167], a[54:55], v[8:11]// 00000000DABC: D3F30008 1C226DA6
	v_fma_f32 v88, v12, v4, v88                                // 00000000DAC4: D1CB0058 0562090C
	v_fma_f32 v89, v13, v4, v89                                // 00000000DACC: D1CB0059 0566090D
	v_fma_f32 v90, v14, v4, v90                                // 00000000DAD4: D1CB005A 056A090E
	v_fma_f32 v91, v15, v4, v91                                // 00000000DADC: D1CB005B 056E090F
	v_mfma_f32_16x16x32_fp8_fp8 v[12:15], a[168:169], a[48:49], 0// 00000000DAE4: D3F3000C 1A0261A8
	buffer_load_dwordx4 a[140:143], v63, s[24:27], 0 offen offset:1024// 00000000DAEC: E05C1400 80868C3F
	buffer_load_dword v50, s[20:23], 0 offen lds               // 00000000DAF4: E0511000 80050032
	s_add_u32 m0, 0x100, s48                                   // 00000000DAFC: 807C30FF 00000100
	v_mfma_f32_16x16x32_fp8_fp8 v[12:15], a[170:171], a[50:51], v[12:15]// 00000000DB04: D3F3000C 1C3265AA
	v_mfma_f32_16x16x32_fp8_fp8 v[12:15], a[172:173], a[52:53], v[12:15]// 00000000DB0C: D3F3000C 1C3269AC
	buffer_load_dword v51, s[20:23], 0 offen lds               // 00000000DB14: E0511000 80050033
	s_add_u32 m0, 0x200, s48                                   // 00000000DB1C: 807C30FF 00000200
	v_mfma_f32_16x16x32_fp8_fp8 v[12:15], a[174:175], a[54:55], v[12:15]// 00000000DB24: D3F3000C 1C326DAE
	v_fma_f32 v108, v8, v6, v108                               // 00000000DB2C: D1CB006C 05B20D08
	v_fma_f32 v109, v9, v6, v109                               // 00000000DB34: D1CB006D 05B60D09
	v_fma_f32 v110, v10, v6, v110                              // 00000000DB3C: D1CB006E 05BA0D0A
	v_fma_f32 v111, v11, v6, v111                              // 00000000DB44: D1CB006F 05BE0D0B
	v_mul_f32_dpp v4, v25, v42 row_newbcast:0 row_mask:0xf bank_mask:0xf// 00000000DB4C: 0A0854FA FF015019
	v_mfma_f32_16x16x32_fp8_fp8 v[8:11], a[144:145], a[56:57], 0// 00000000DB54: D3F30008 1A027190
	buffer_load_dword v52, s[20:23], 0 offen lds               // 00000000DB5C: E0511000 80050034
	s_add_u32 m0, 0x300, s48                                   // 00000000DB64: 807C30FF 00000300
	v_mfma_f32_16x16x32_fp8_fp8 v[8:11], a[146:147], a[58:59], v[8:11]// 00000000DB6C: D3F30008 1C227592
	v_mfma_f32_16x16x32_fp8_fp8 v[8:11], a[148:149], a[60:61], v[8:11]// 00000000DB74: D3F30008 1C227994
	buffer_load_dword v53, s[20:23], 0 offen lds               // 00000000DB7C: E0511000 80050035
	s_add_u32 m0, 0x400, s48                                   // 00000000DB84: 807C30FF 00000400
	v_mfma_f32_16x16x32_fp8_fp8 v[8:11], a[150:151], a[62:63], v[8:11]// 00000000DB8C: D3F30008 1C227D96
	v_fma_f32 v128, v12, v6, v128                              // 00000000DB94: D1CB0080 06020D0C
	v_fma_f32 v129, v13, v6, v129                              // 00000000DB9C: D1CB0081 06060D0D
	v_fma_f32 v130, v14, v6, v130                              // 00000000DBA4: D1CB0082 060A0D0E
	v_fma_f32 v131, v15, v6, v131                              // 00000000DBAC: D1CB0083 060E0D0F
	v_mfma_f32_16x16x32_fp8_fp8 v[12:15], a[152:153], a[56:57], 0// 00000000DBB4: D3F3000C 1A027198
	buffer_load_dword v54, s[20:23], 0 offen lds               // 00000000DBBC: E0511000 80050036
	s_add_u32 m0, 0x500, s48                                   // 00000000DBC4: 807C30FF 00000500
	v_mfma_f32_16x16x32_fp8_fp8 v[12:15], a[154:155], a[58:59], v[12:15]// 00000000DBCC: D3F3000C 1C32759A
	v_mfma_f32_16x16x32_fp8_fp8 v[12:15], a[156:157], a[60:61], v[12:15]// 00000000DBD4: D3F3000C 1C32799C
	buffer_load_dword v55, s[20:23], 0 offen lds               // 00000000DBDC: E0511000 80050037
	s_add_u32 m0, 0x600, s48                                   // 00000000DBE4: 807C30FF 00000600
	v_mfma_f32_16x16x32_fp8_fp8 v[12:15], a[158:159], a[62:63], v[12:15]// 00000000DBEC: D3F3000C 1C327D9E
	v_fma_f32 v72, v8, v4, v72                                 // 00000000DBF4: D1CB0048 05220908
	v_fma_f32 v73, v9, v4, v73                                 // 00000000DBFC: D1CB0049 05260909
	v_fma_f32 v74, v10, v4, v74                                // 00000000DC04: D1CB004A 052A090A
	v_fma_f32 v75, v11, v4, v75                                // 00000000DC0C: D1CB004B 052E090B
	v_mul_f32_dpp v6, v25, v42 row_newbcast:1 row_mask:0xf bank_mask:0xf// 00000000DC14: 0A0C54FA FF015119
	v_mfma_f32_16x16x32_fp8_fp8 v[8:11], a[160:161], a[56:57], 0// 00000000DC1C: D3F30008 1A0271A0
	buffer_load_dword v56, s[20:23], 0 offen lds               // 00000000DC24: E0511000 80050038
	s_add_u32 m0, 0x700, s48                                   // 00000000DC2C: 807C30FF 00000700
	v_mfma_f32_16x16x32_fp8_fp8 v[8:11], a[162:163], a[58:59], v[8:11]// 00000000DC34: D3F30008 1C2275A2
	v_mfma_f32_16x16x32_fp8_fp8 v[8:11], a[164:165], a[60:61], v[8:11]// 00000000DC3C: D3F30008 1C2279A4
	buffer_load_dword v57, s[20:23], 0 offen lds               // 00000000DC44: E0511000 80050039
	s_add_u32 m0, 0x800, s48                                   // 00000000DC4C: 807C30FF 00000800
	v_mfma_f32_16x16x32_fp8_fp8 v[8:11], a[166:167], a[62:63], v[8:11]// 00000000DC54: D3F30008 1C227DA6
	v_fma_f32 v92, v12, v4, v92                                // 00000000DC5C: D1CB005C 0572090C
	v_fma_f32 v93, v13, v4, v93                                // 00000000DC64: D1CB005D 0576090D
	v_fma_f32 v94, v14, v4, v94                                // 00000000DC6C: D1CB005E 057A090E
	v_fma_f32 v95, v15, v4, v95                                // 00000000DC74: D1CB005F 057E090F
	v_mfma_f32_16x16x32_fp8_fp8 v[12:15], a[168:169], a[56:57], 0// 00000000DC7C: D3F3000C 1A0271A8
	buffer_load_dword v58, s[20:23], 0 offen lds               // 00000000DC84: E0511000 8005003A
	s_add_u32 m0, 0x900, s48                                   // 00000000DC8C: 807C30FF 00000900
	v_mfma_f32_16x16x32_fp8_fp8 v[12:15], a[170:171], a[58:59], v[12:15]// 00000000DC94: D3F3000C 1C3275AA
	v_mfma_f32_16x16x32_fp8_fp8 v[12:15], a[172:173], a[60:61], v[12:15]// 00000000DC9C: D3F3000C 1C3279AC
	buffer_load_dword v59, s[20:23], 0 offen lds               // 00000000DCA4: E0511000 8005003B
	s_add_u32 m0, 0, s49                                       // 00000000DCAC: 807C3180
	v_mfma_f32_16x16x32_fp8_fp8 v[12:15], a[174:175], a[62:63], v[12:15]// 00000000DCB0: D3F3000C 1C327DAE
	v_fma_f32 v112, v8, v6, v112                               // 00000000DCB8: D1CB0070 05C20D08
	v_fma_f32 v113, v9, v6, v113                               // 00000000DCC0: D1CB0071 05C60D09
	v_fma_f32 v114, v10, v6, v114                              // 00000000DCC8: D1CB0072 05CA0D0A
	v_fma_f32 v115, v11, v6, v115                              // 00000000DCD0: D1CB0073 05CE0D0B
	v_mul_f32_dpp v4, v25, v43 row_newbcast:0 row_mask:0xf bank_mask:0xf// 00000000DCD8: 0A0856FA FF015019
	v_mfma_f32_16x16x32_fp8_fp8 v[8:11], a[144:145], a[64:65], 0// 00000000DCE0: D3F30008 1A028190
	buffer_load_dword v35, v30, s[28:31], 0 offen              // 00000000DCE8: E0501000 8007231E
	v_mfma_f32_16x16x32_fp8_fp8 v[8:11], a[146:147], a[66:67], v[8:11]// 00000000DCF0: D3F30008 1C228592
	v_mfma_f32_16x16x32_fp8_fp8 v[8:11], a[148:149], a[68:69], v[8:11]// 00000000DCF8: D3F30008 1C228994
	buffer_load_dword v36, v31, s[28:31], 0 offen              // 00000000DD00: E0501000 8007241F
	v_mfma_f32_16x16x32_fp8_fp8 v[8:11], a[150:151], a[70:71], v[8:11]// 00000000DD08: D3F30008 1C228D96
	v_fma_f32 v132, v12, v6, v132                              // 00000000DD10: D1CB0084 06120D0C
	v_fma_f32 v133, v13, v6, v133                              // 00000000DD18: D1CB0085 06160D0D
	v_fma_f32 v134, v14, v6, v134                              // 00000000DD20: D1CB0086 061A0D0E
	v_fma_f32 v135, v15, v6, v135                              // 00000000DD28: D1CB0087 061E0D0F
	v_mfma_f32_16x16x32_fp8_fp8 v[12:15], a[152:153], a[64:65], 0// 00000000DD30: D3F3000C 1A028198
	buffer_load_dword v37, v32, s[28:31], 0 offen              // 00000000DD38: E0501000 80072520
	v_mfma_f32_16x16x32_fp8_fp8 v[12:15], a[154:155], a[66:67], v[12:15]// 00000000DD40: D3F3000C 1C32859A
	v_mfma_f32_16x16x32_fp8_fp8 v[12:15], a[156:157], a[68:69], v[12:15]// 00000000DD48: D3F3000C 1C32899C
	buffer_load_dword v38, v33, s[28:31], 0 offen              // 00000000DD50: E0501000 80072621
	v_mfma_f32_16x16x32_fp8_fp8 v[12:15], a[158:159], a[70:71], v[12:15]// 00000000DD58: D3F3000C 1C328D9E
	v_fma_f32 v76, v8, v4, v76                                 // 00000000DD60: D1CB004C 05320908
	v_fma_f32 v77, v9, v4, v77                                 // 00000000DD68: D1CB004D 05360909
	v_fma_f32 v78, v10, v4, v78                                // 00000000DD70: D1CB004E 053A090A
	v_fma_f32 v79, v11, v4, v79                                // 00000000DD78: D1CB004F 053E090B
	v_mul_f32_dpp v6, v25, v43 row_newbcast:1 row_mask:0xf bank_mask:0xf// 00000000DD80: 0A0C56FA FF015119
	v_mfma_f32_16x16x32_fp8_fp8 v[8:11], a[160:161], a[64:65], 0// 00000000DD88: D3F30008 1A0281A0
	buffer_load_dword v39, v34, s[28:31], 0 offen              // 00000000DD90: E0501000 80072722
	v_mfma_f32_16x16x32_fp8_fp8 v[8:11], a[162:163], a[66:67], v[8:11]// 00000000DD98: D3F30008 1C2285A2
	v_mfma_f32_16x16x32_fp8_fp8 v[8:11], a[164:165], a[68:69], v[8:11]// 00000000DDA0: D3F30008 1C2289A4
	v_mfma_f32_16x16x32_fp8_fp8 v[8:11], a[166:167], a[70:71], v[8:11]// 00000000DDA8: D3F30008 1C228DA6
	v_fma_f32 v96, v12, v4, v96                                // 00000000DDB0: D1CB0060 0582090C
	v_fma_f32 v97, v13, v4, v97                                // 00000000DDB8: D1CB0061 0586090D
	v_fma_f32 v98, v14, v4, v98                                // 00000000DDC0: D1CB0062 058A090E
	v_fma_f32 v99, v15, v4, v99                                // 00000000DDC8: D1CB0063 058E090F
	v_mfma_f32_16x16x32_fp8_fp8 v[12:15], a[168:169], a[64:65], 0// 00000000DDD0: D3F3000C 1A0281A8
	v_mfma_f32_16x16x32_fp8_fp8 v[12:15], a[170:171], a[66:67], v[12:15]// 00000000DDD8: D3F3000C 1C3285AA
	v_mfma_f32_16x16x32_fp8_fp8 v[12:15], a[172:173], a[68:69], v[12:15]// 00000000DDE0: D3F3000C 1C3289AC
	v_mfma_f32_16x16x32_fp8_fp8 v[12:15], a[174:175], a[70:71], v[12:15]// 00000000DDE8: D3F3000C 1C328DAE
	v_fma_f32 v116, v8, v6, v116                               // 00000000DDF0: D1CB0074 05D20D08
	v_fma_f32 v117, v9, v6, v117                               // 00000000DDF8: D1CB0075 05D60D09
	v_fma_f32 v118, v10, v6, v118                              // 00000000DE00: D1CB0076 05DA0D0A
	v_fma_f32 v119, v11, v6, v119                              // 00000000DE08: D1CB0077 05DE0D0B
	v_mul_f32_dpp v4, v25, v44 row_newbcast:0 row_mask:0xf bank_mask:0xf// 00000000DE10: 0A0858FA FF015019
	v_mfma_f32_16x16x32_fp8_fp8 v[8:11], a[144:145], a[72:73], 0// 00000000DE18: D3F30008 1A029190
	v_mfma_f32_16x16x32_fp8_fp8 v[8:11], a[146:147], a[74:75], v[8:11]// 00000000DE20: D3F30008 1C229592
	v_mfma_f32_16x16x32_fp8_fp8 v[8:11], a[148:149], a[76:77], v[8:11]// 00000000DE28: D3F30008 1C229994
	v_mfma_f32_16x16x32_fp8_fp8 v[8:11], a[150:151], a[78:79], v[8:11]// 00000000DE30: D3F30008 1C229D96
	v_fma_f32 v136, v12, v6, v136                              // 00000000DE38: D1CB0088 06220D0C
	v_fma_f32 v137, v13, v6, v137                              // 00000000DE40: D1CB0089 06260D0D
	v_fma_f32 v138, v14, v6, v138                              // 00000000DE48: D1CB008A 062A0D0E
	v_fma_f32 v139, v15, v6, v139                              // 00000000DE50: D1CB008B 062E0D0F
	v_mfma_f32_16x16x32_fp8_fp8 v[12:15], a[152:153], a[72:73], 0// 00000000DE58: D3F3000C 1A029198
	v_mfma_f32_16x16x32_fp8_fp8 v[12:15], a[154:155], a[74:75], v[12:15]// 00000000DE60: D3F3000C 1C32959A
	v_mfma_f32_16x16x32_fp8_fp8 v[12:15], a[156:157], a[76:77], v[12:15]// 00000000DE68: D3F3000C 1C32999C
	v_mfma_f32_16x16x32_fp8_fp8 v[12:15], a[158:159], a[78:79], v[12:15]// 00000000DE70: D3F3000C 1C329D9E
	v_fma_f32 v80, v8, v4, v80                                 // 00000000DE78: D1CB0050 05420908
	v_fma_f32 v81, v9, v4, v81                                 // 00000000DE80: D1CB0051 05460909
	v_fma_f32 v82, v10, v4, v82                                // 00000000DE88: D1CB0052 054A090A
	v_fma_f32 v83, v11, v4, v83                                // 00000000DE90: D1CB0053 054E090B
	v_mul_f32_dpp v6, v25, v44 row_newbcast:1 row_mask:0xf bank_mask:0xf// 00000000DE98: 0A0C58FA FF015119
	v_mfma_f32_16x16x32_fp8_fp8 v[8:11], a[160:161], a[72:73], 0// 00000000DEA0: D3F30008 1A0291A0
	v_mfma_f32_16x16x32_fp8_fp8 v[8:11], a[162:163], a[74:75], v[8:11]// 00000000DEA8: D3F30008 1C2295A2
	v_mfma_f32_16x16x32_fp8_fp8 v[8:11], a[164:165], a[76:77], v[8:11]// 00000000DEB0: D3F30008 1C2299A4
	v_mfma_f32_16x16x32_fp8_fp8 v[8:11], a[166:167], a[78:79], v[8:11]// 00000000DEB8: D3F30008 1C229DA6
	v_fma_f32 v100, v12, v4, v100                              // 00000000DEC0: D1CB0064 0592090C
	v_fma_f32 v101, v13, v4, v101                              // 00000000DEC8: D1CB0065 0596090D
	v_fma_f32 v102, v14, v4, v102                              // 00000000DED0: D1CB0066 059A090E
	v_fma_f32 v103, v15, v4, v103                              // 00000000DED8: D1CB0067 059E090F
	v_mfma_f32_16x16x32_fp8_fp8 v[12:15], a[168:169], a[72:73], 0// 00000000DEE0: D3F3000C 1A0291A8
	v_mfma_f32_16x16x32_fp8_fp8 v[12:15], a[170:171], a[74:75], v[12:15]// 00000000DEE8: D3F3000C 1C3295AA
	v_mfma_f32_16x16x32_fp8_fp8 v[12:15], a[172:173], a[76:77], v[12:15]// 00000000DEF0: D3F3000C 1C3299AC
	v_mfma_f32_16x16x32_fp8_fp8 v[12:15], a[174:175], a[78:79], v[12:15]// 00000000DEF8: D3F3000C 1C329DAE
	v_fma_f32 v120, v8, v6, v120                               // 00000000DF00: D1CB0078 05E20D08
	v_fma_f32 v121, v9, v6, v121                               // 00000000DF08: D1CB0079 05E60D09
	v_fma_f32 v122, v10, v6, v122                              // 00000000DF10: D1CB007A 05EA0D0A
	v_fma_f32 v123, v11, v6, v123                              // 00000000DF18: D1CB007B 05EE0D0B
	v_fma_f32 v140, v12, v6, v140                              // 00000000DF20: D1CB008C 06320D0C
	v_fma_f32 v141, v13, v6, v141                              // 00000000DF28: D1CB008D 06360D0D
	v_fma_f32 v142, v14, v6, v142                              // 00000000DF30: D1CB008E 063A0D0E
	v_fma_f32 v143, v15, v6, v143                              // 00000000DF38: D1CB008F 063E0D0F
	s_waitcnt vmcnt(24)                                        // 00000000DF40: BF8C4F78
	s_barrier                                                  // 00000000DF44: BF8A0000
	v_mul_f32_dpp v4, v28, v40 row_newbcast:0 row_mask:0xf bank_mask:0xf// 00000000DF48: 0A0850FA FF01501C
	v_mfma_f32_16x16x32_fp8_fp8 v[8:11], a[80:81], a[40:41], 0 // 00000000DF50: D3F30008 1A025150
	buffer_load_dword v29, v23, s[32:35], 0 offen              // 00000000DF58: E0501000 80081D17
	buffer_load_dwordx4 a[144:147], v60, s[84:87], 0 offen     // 00000000DF60: E05C1000 8095903C
	v_mfma_f32_16x16x32_fp8_fp8 v[8:11], a[82:83], a[42:43], v[8:11]// 00000000DF68: D3F30008 1C225552
	v_mfma_f32_16x16x32_fp8_fp8 v[8:11], a[84:85], a[44:45], v[8:11]// 00000000DF70: D3F30008 1C225954
	ds_read_b128 a[0:3], v2 offset:20736                       // 00000000DF78: DBFE5100 00000002
	ds_read_b128 a[4:7], v2 offset:20800                       // 00000000DF80: DBFE5140 04000002
	v_mfma_f32_16x16x32_fp8_fp8 v[8:11], a[86:87], a[46:47], v[8:11]// 00000000DF88: D3F30008 1C225D56
	v_mfma_f32_16x16x32_fp8_fp8 v[12:15], a[88:89], a[40:41], 0// 00000000DF90: D3F3000C 1A025158
	buffer_load_dwordx4 a[148:151], v60, s[84:87], 0 offen offset:1024// 00000000DF98: E05C1400 8095943C
	v_mfma_f32_16x16x32_fp8_fp8 v[12:15], a[90:91], a[42:43], v[12:15]// 00000000DFA0: D3F3000C 1C32555A
	v_mfma_f32_16x16x32_fp8_fp8 v[12:15], a[92:93], a[44:45], v[12:15]// 00000000DFA8: D3F3000C 1C32595C
	ds_read_b128 a[8:11], v2 offset:21248                      // 00000000DFB0: DBFE5300 08000002
	ds_read_b128 a[12:15], v2 offset:21312                     // 00000000DFB8: DBFE5340 0C000002
	v_mfma_f32_16x16x32_fp8_fp8 v[12:15], a[94:95], a[46:47], v[12:15]// 00000000DFC0: D3F3000C 1C325D5E
	v_fma_f32 v144, v8, v4, v144                               // 00000000DFC8: D1CB0090 06420908
	v_fma_f32 v145, v9, v4, v145                               // 00000000DFD0: D1CB0091 06460909
	v_fma_f32 v146, v10, v4, v146                              // 00000000DFD8: D1CB0092 064A090A
	v_fma_f32 v147, v11, v4, v147                              // 00000000DFE0: D1CB0093 064E090B
	v_mul_f32_dpp v6, v28, v40 row_newbcast:1 row_mask:0xf bank_mask:0xf// 00000000DFE8: 0A0C50FA FF01511C
	v_mfma_f32_16x16x32_fp8_fp8 v[8:11], a[96:97], a[40:41], 0 // 00000000DFF0: D3F30008 1A025160
	buffer_load_dwordx4 a[152:155], v61, s[84:87], 0 offen     // 00000000DFF8: E05C1000 8095983D
	v_mfma_f32_16x16x32_fp8_fp8 v[8:11], a[98:99], a[42:43], v[8:11]// 00000000E000: D3F30008 1C225562
	v_mfma_f32_16x16x32_fp8_fp8 v[8:11], a[100:101], a[44:45], v[8:11]// 00000000E008: D3F30008 1C225964
	ds_read_b128 a[16:19], v2 offset:21760                     // 00000000E010: DBFE5500 10000002
	ds_read_b128 a[20:23], v2 offset:21824                     // 00000000E018: DBFE5540 14000002
	v_mfma_f32_16x16x32_fp8_fp8 v[8:11], a[102:103], a[46:47], v[8:11]// 00000000E020: D3F30008 1C225D66
	v_fma_f32 v164, v12, v4, v164                              // 00000000E028: D1CB00A4 0692090C
	v_fma_f32 v165, v13, v4, v165                              // 00000000E030: D1CB00A5 0696090D
	v_fma_f32 v166, v14, v4, v166                              // 00000000E038: D1CB00A6 069A090E
	v_fma_f32 v167, v15, v4, v167                              // 00000000E040: D1CB00A7 069E090F
	v_mfma_f32_16x16x32_fp8_fp8 v[12:15], a[104:105], a[40:41], 0// 00000000E048: D3F3000C 1A025168
	buffer_load_dwordx4 a[156:159], v61, s[84:87], 0 offen offset:1024// 00000000E050: E05C1400 80959C3D
	v_mfma_f32_16x16x32_fp8_fp8 v[12:15], a[106:107], a[42:43], v[12:15]// 00000000E058: D3F3000C 1C32556A
	v_mfma_f32_16x16x32_fp8_fp8 v[12:15], a[108:109], a[44:45], v[12:15]// 00000000E060: D3F3000C 1C32596C
	ds_read_b128 a[24:27], v2 offset:22272                     // 00000000E068: DBFE5700 18000002
	ds_read_b128 a[28:31], v2 offset:22336                     // 00000000E070: DBFE5740 1C000002
	v_mfma_f32_16x16x32_fp8_fp8 v[12:15], a[110:111], a[46:47], v[12:15]// 00000000E078: D3F3000C 1C325D6E
	v_fma_f32 v184, v8, v6, v184                               // 00000000E080: D1CB00B8 06E20D08
	v_fma_f32 v185, v9, v6, v185                               // 00000000E088: D1CB00B9 06E60D09
	v_fma_f32 v186, v10, v6, v186                              // 00000000E090: D1CB00BA 06EA0D0A
	v_fma_f32 v187, v11, v6, v187                              // 00000000E098: D1CB00BB 06EE0D0B
	v_mul_f32_dpp v4, v28, v41 row_newbcast:0 row_mask:0xf bank_mask:0xf// 00000000E0A0: 0A0852FA FF01501C
	v_mfma_f32_16x16x32_fp8_fp8 v[8:11], a[80:81], a[48:49], 0 // 00000000E0A8: D3F30008 1A026150
	buffer_load_dwordx4 a[160:163], v62, s[84:87], 0 offen     // 00000000E0B0: E05C1000 8095A03E
	v_mfma_f32_16x16x32_fp8_fp8 v[8:11], a[82:83], a[50:51], v[8:11]// 00000000E0B8: D3F30008 1C226552
	v_mfma_f32_16x16x32_fp8_fp8 v[8:11], a[84:85], a[52:53], v[8:11]// 00000000E0C0: D3F30008 1C226954
	ds_read_b128 a[32:35], v2 offset:22784                     // 00000000E0C8: DBFE5900 20000002
	ds_read_b128 a[36:39], v2 offset:22848                     // 00000000E0D0: DBFE5940 24000002
	v_mfma_f32_16x16x32_fp8_fp8 v[8:11], a[86:87], a[54:55], v[8:11]// 00000000E0D8: D3F30008 1C226D56
	v_fma_f32 v204, v12, v6, v204                              // 00000000E0E0: D1CB00CC 07320D0C
	v_fma_f32 v205, v13, v6, v205                              // 00000000E0E8: D1CB00CD 07360D0D
	v_fma_f32 v206, v14, v6, v206                              // 00000000E0F0: D1CB00CE 073A0D0E
	v_fma_f32 v207, v15, v6, v207                              // 00000000E0F8: D1CB00CF 073E0D0F
	v_mfma_f32_16x16x32_fp8_fp8 v[12:15], a[88:89], a[48:49], 0// 00000000E100: D3F3000C 1A026158
	buffer_load_dwordx4 a[164:167], v62, s[84:87], 0 offen offset:1024// 00000000E108: E05C1400 8095A43E
	v_mfma_f32_16x16x32_fp8_fp8 v[12:15], a[90:91], a[50:51], v[12:15]// 00000000E110: D3F3000C 1C32655A
	v_mfma_f32_16x16x32_fp8_fp8 v[12:15], a[92:93], a[52:53], v[12:15]// 00000000E118: D3F3000C 1C32695C
	v_mfma_f32_16x16x32_fp8_fp8 v[12:15], a[94:95], a[54:55], v[12:15]// 00000000E120: D3F3000C 1C326D5E
	v_fma_f32 v148, v8, v4, v148                               // 00000000E128: D1CB0094 06520908
	v_fma_f32 v149, v9, v4, v149                               // 00000000E130: D1CB0095 06560909
	v_fma_f32 v150, v10, v4, v150                              // 00000000E138: D1CB0096 065A090A
	v_fma_f32 v151, v11, v4, v151                              // 00000000E140: D1CB0097 065E090B
	v_mul_f32_dpp v6, v28, v41 row_newbcast:1 row_mask:0xf bank_mask:0xf// 00000000E148: 0A0C52FA FF01511C
	v_mfma_f32_16x16x32_fp8_fp8 v[8:11], a[96:97], a[48:49], 0 // 00000000E150: D3F30008 1A026160
	buffer_load_dwordx4 a[168:171], v63, s[84:87], 0 offen     // 00000000E158: E05C1000 8095A83F
	v_mfma_f32_16x16x32_fp8_fp8 v[8:11], a[98:99], a[50:51], v[8:11]// 00000000E160: D3F30008 1C226562
	v_mfma_f32_16x16x32_fp8_fp8 v[8:11], a[100:101], a[52:53], v[8:11]// 00000000E168: D3F30008 1C226964
	v_mfma_f32_16x16x32_fp8_fp8 v[8:11], a[102:103], a[54:55], v[8:11]// 00000000E170: D3F30008 1C226D66
	v_fma_f32 v168, v12, v4, v168                              // 00000000E178: D1CB00A8 06A2090C
	v_fma_f32 v169, v13, v4, v169                              // 00000000E180: D1CB00A9 06A6090D
	v_fma_f32 v170, v14, v4, v170                              // 00000000E188: D1CB00AA 06AA090E
	v_fma_f32 v171, v15, v4, v171                              // 00000000E190: D1CB00AB 06AE090F
	v_mfma_f32_16x16x32_fp8_fp8 v[12:15], a[104:105], a[48:49], 0// 00000000E198: D3F3000C 1A026168
	buffer_load_dwordx4 a[172:175], v63, s[84:87], 0 offen offset:1024// 00000000E1A0: E05C1400 8095AC3F
	v_mfma_f32_16x16x32_fp8_fp8 v[12:15], a[106:107], a[50:51], v[12:15]// 00000000E1A8: D3F3000C 1C32656A
	v_mfma_f32_16x16x32_fp8_fp8 v[12:15], a[108:109], a[52:53], v[12:15]// 00000000E1B0: D3F3000C 1C32696C
	v_mfma_f32_16x16x32_fp8_fp8 v[12:15], a[110:111], a[54:55], v[12:15]// 00000000E1B8: D3F3000C 1C326D6E
	v_fma_f32 v188, v8, v6, v188                               // 00000000E1C0: D1CB00BC 06F20D08
	v_fma_f32 v189, v9, v6, v189                               // 00000000E1C8: D1CB00BD 06F60D09
	v_fma_f32 v190, v10, v6, v190                              // 00000000E1D0: D1CB00BE 06FA0D0A
	v_fma_f32 v191, v11, v6, v191                              // 00000000E1D8: D1CB00BF 06FE0D0B
	v_mul_f32_dpp v4, v28, v42 row_newbcast:0 row_mask:0xf bank_mask:0xf// 00000000E1E0: 0A0854FA FF01501C
	v_mfma_f32_16x16x32_fp8_fp8 v[8:11], a[80:81], a[56:57], 0 // 00000000E1E8: D3F30008 1A027150
	v_mfma_f32_16x16x32_fp8_fp8 v[8:11], a[82:83], a[58:59], v[8:11]// 00000000E1F0: D3F30008 1C227552
	v_mfma_f32_16x16x32_fp8_fp8 v[8:11], a[84:85], a[60:61], v[8:11]// 00000000E1F8: D3F30008 1C227954
	v_mfma_f32_16x16x32_fp8_fp8 v[8:11], a[86:87], a[62:63], v[8:11]// 00000000E200: D3F30008 1C227D56
	v_fma_f32 v208, v12, v6, v208                              // 00000000E208: D1CB00D0 07420D0C
	v_fma_f32 v209, v13, v6, v209                              // 00000000E210: D1CB00D1 07460D0D
	v_fma_f32 v210, v14, v6, v210                              // 00000000E218: D1CB00D2 074A0D0E
	v_fma_f32 v211, v15, v6, v211                              // 00000000E220: D1CB00D3 074E0D0F
	v_mfma_f32_16x16x32_fp8_fp8 v[12:15], a[88:89], a[56:57], 0// 00000000E228: D3F3000C 1A027158
	v_mfma_f32_16x16x32_fp8_fp8 v[12:15], a[90:91], a[58:59], v[12:15]// 00000000E230: D3F3000C 1C32755A
	v_mfma_f32_16x16x32_fp8_fp8 v[12:15], a[92:93], a[60:61], v[12:15]// 00000000E238: D3F3000C 1C32795C
	v_mfma_f32_16x16x32_fp8_fp8 v[12:15], a[94:95], a[62:63], v[12:15]// 00000000E240: D3F3000C 1C327D5E
	v_fma_f32 v152, v8, v4, v152                               // 00000000E248: D1CB0098 06620908
	v_fma_f32 v153, v9, v4, v153                               // 00000000E250: D1CB0099 06660909
	v_fma_f32 v154, v10, v4, v154                              // 00000000E258: D1CB009A 066A090A
	v_fma_f32 v155, v11, v4, v155                              // 00000000E260: D1CB009B 066E090B
	v_mul_f32_dpp v6, v28, v42 row_newbcast:1 row_mask:0xf bank_mask:0xf// 00000000E268: 0A0C54FA FF01511C
	v_mfma_f32_16x16x32_fp8_fp8 v[8:11], a[96:97], a[56:57], 0 // 00000000E270: D3F30008 1A027160
	v_mfma_f32_16x16x32_fp8_fp8 v[8:11], a[98:99], a[58:59], v[8:11]// 00000000E278: D3F30008 1C227562
	v_mfma_f32_16x16x32_fp8_fp8 v[8:11], a[100:101], a[60:61], v[8:11]// 00000000E280: D3F30008 1C227964
	v_mfma_f32_16x16x32_fp8_fp8 v[8:11], a[102:103], a[62:63], v[8:11]// 00000000E288: D3F30008 1C227D66
	v_fma_f32 v172, v12, v4, v172                              // 00000000E290: D1CB00AC 06B2090C
	v_fma_f32 v173, v13, v4, v173                              // 00000000E298: D1CB00AD 06B6090D
	v_fma_f32 v174, v14, v4, v174                              // 00000000E2A0: D1CB00AE 06BA090E
	v_fma_f32 v175, v15, v4, v175                              // 00000000E2A8: D1CB00AF 06BE090F
	v_mfma_f32_16x16x32_fp8_fp8 v[12:15], a[104:105], a[56:57], 0// 00000000E2B0: D3F3000C 1A027168
	v_mfma_f32_16x16x32_fp8_fp8 v[12:15], a[106:107], a[58:59], v[12:15]// 00000000E2B8: D3F3000C 1C32756A
	v_mfma_f32_16x16x32_fp8_fp8 v[12:15], a[108:109], a[60:61], v[12:15]// 00000000E2C0: D3F3000C 1C32796C
	v_mfma_f32_16x16x32_fp8_fp8 v[12:15], a[110:111], a[62:63], v[12:15]// 00000000E2C8: D3F3000C 1C327D6E
	v_fma_f32 v192, v8, v6, v192                               // 00000000E2D0: D1CB00C0 07020D08
	v_fma_f32 v193, v9, v6, v193                               // 00000000E2D8: D1CB00C1 07060D09
	v_fma_f32 v194, v10, v6, v194                              // 00000000E2E0: D1CB00C2 070A0D0A
	v_fma_f32 v195, v11, v6, v195                              // 00000000E2E8: D1CB00C3 070E0D0B
	v_mul_f32_dpp v4, v28, v43 row_newbcast:0 row_mask:0xf bank_mask:0xf// 00000000E2F0: 0A0856FA FF01501C
	v_mfma_f32_16x16x32_fp8_fp8 v[8:11], a[80:81], a[64:65], 0 // 00000000E2F8: D3F30008 1A028150
	v_mfma_f32_16x16x32_fp8_fp8 v[8:11], a[82:83], a[66:67], v[8:11]// 00000000E300: D3F30008 1C228552
	v_mfma_f32_16x16x32_fp8_fp8 v[8:11], a[84:85], a[68:69], v[8:11]// 00000000E308: D3F30008 1C228954
	v_mfma_f32_16x16x32_fp8_fp8 v[8:11], a[86:87], a[70:71], v[8:11]// 00000000E310: D3F30008 1C228D56
	v_fma_f32 v212, v12, v6, v212                              // 00000000E318: D1CB00D4 07520D0C
	v_fma_f32 v213, v13, v6, v213                              // 00000000E320: D1CB00D5 07560D0D
	v_fma_f32 v214, v14, v6, v214                              // 00000000E328: D1CB00D6 075A0D0E
	v_fma_f32 v215, v15, v6, v215                              // 00000000E330: D1CB00D7 075E0D0F
	v_mfma_f32_16x16x32_fp8_fp8 v[12:15], a[88:89], a[64:65], 0// 00000000E338: D3F3000C 1A028158
	v_mfma_f32_16x16x32_fp8_fp8 v[12:15], a[90:91], a[66:67], v[12:15]// 00000000E340: D3F3000C 1C32855A
	v_mfma_f32_16x16x32_fp8_fp8 v[12:15], a[92:93], a[68:69], v[12:15]// 00000000E348: D3F3000C 1C32895C
	v_mfma_f32_16x16x32_fp8_fp8 v[12:15], a[94:95], a[70:71], v[12:15]// 00000000E350: D3F3000C 1C328D5E
	v_fma_f32 v156, v8, v4, v156                               // 00000000E358: D1CB009C 06720908
	v_fma_f32 v157, v9, v4, v157                               // 00000000E360: D1CB009D 06760909
	v_fma_f32 v158, v10, v4, v158                              // 00000000E368: D1CB009E 067A090A
	v_fma_f32 v159, v11, v4, v159                              // 00000000E370: D1CB009F 067E090B
	v_mul_f32_dpp v6, v28, v43 row_newbcast:1 row_mask:0xf bank_mask:0xf// 00000000E378: 0A0C56FA FF01511C
	v_mfma_f32_16x16x32_fp8_fp8 v[8:11], a[96:97], a[64:65], 0 // 00000000E380: D3F30008 1A028160
	v_mfma_f32_16x16x32_fp8_fp8 v[8:11], a[98:99], a[66:67], v[8:11]// 00000000E388: D3F30008 1C228562
	v_mfma_f32_16x16x32_fp8_fp8 v[8:11], a[100:101], a[68:69], v[8:11]// 00000000E390: D3F30008 1C228964
	v_mfma_f32_16x16x32_fp8_fp8 v[8:11], a[102:103], a[70:71], v[8:11]// 00000000E398: D3F30008 1C228D66
	v_fma_f32 v176, v12, v4, v176                              // 00000000E3A0: D1CB00B0 06C2090C
	v_fma_f32 v177, v13, v4, v177                              // 00000000E3A8: D1CB00B1 06C6090D
	v_fma_f32 v178, v14, v4, v178                              // 00000000E3B0: D1CB00B2 06CA090E
	v_fma_f32 v179, v15, v4, v179                              // 00000000E3B8: D1CB00B3 06CE090F
	v_mfma_f32_16x16x32_fp8_fp8 v[12:15], a[104:105], a[64:65], 0// 00000000E3C0: D3F3000C 1A028168
	v_mfma_f32_16x16x32_fp8_fp8 v[12:15], a[106:107], a[66:67], v[12:15]// 00000000E3C8: D3F3000C 1C32856A
	v_mfma_f32_16x16x32_fp8_fp8 v[12:15], a[108:109], a[68:69], v[12:15]// 00000000E3D0: D3F3000C 1C32896C
	v_mfma_f32_16x16x32_fp8_fp8 v[12:15], a[110:111], a[70:71], v[12:15]// 00000000E3D8: D3F3000C 1C328D6E
	v_fma_f32 v196, v8, v6, v196                               // 00000000E3E0: D1CB00C4 07120D08
	v_fma_f32 v197, v9, v6, v197                               // 00000000E3E8: D1CB00C5 07160D09
	v_fma_f32 v198, v10, v6, v198                              // 00000000E3F0: D1CB00C6 071A0D0A
	v_fma_f32 v199, v11, v6, v199                              // 00000000E3F8: D1CB00C7 071E0D0B
	v_mul_f32_dpp v4, v28, v44 row_newbcast:0 row_mask:0xf bank_mask:0xf// 00000000E400: 0A0858FA FF01501C
	v_mfma_f32_16x16x32_fp8_fp8 v[8:11], a[80:81], a[72:73], 0 // 00000000E408: D3F30008 1A029150
	v_mfma_f32_16x16x32_fp8_fp8 v[8:11], a[82:83], a[74:75], v[8:11]// 00000000E410: D3F30008 1C229552
	v_mfma_f32_16x16x32_fp8_fp8 v[8:11], a[84:85], a[76:77], v[8:11]// 00000000E418: D3F30008 1C229954
	v_mfma_f32_16x16x32_fp8_fp8 v[8:11], a[86:87], a[78:79], v[8:11]// 00000000E420: D3F30008 1C229D56
	v_fma_f32 v216, v12, v6, v216                              // 00000000E428: D1CB00D8 07620D0C
	v_fma_f32 v217, v13, v6, v217                              // 00000000E430: D1CB00D9 07660D0D
	v_fma_f32 v218, v14, v6, v218                              // 00000000E438: D1CB00DA 076A0D0E
	v_fma_f32 v219, v15, v6, v219                              // 00000000E440: D1CB00DB 076E0D0F
	v_mfma_f32_16x16x32_fp8_fp8 v[12:15], a[88:89], a[72:73], 0// 00000000E448: D3F3000C 1A029158
	v_mfma_f32_16x16x32_fp8_fp8 v[12:15], a[90:91], a[74:75], v[12:15]// 00000000E450: D3F3000C 1C32955A
	v_mfma_f32_16x16x32_fp8_fp8 v[12:15], a[92:93], a[76:77], v[12:15]// 00000000E458: D3F3000C 1C32995C
	v_mfma_f32_16x16x32_fp8_fp8 v[12:15], a[94:95], a[78:79], v[12:15]// 00000000E460: D3F3000C 1C329D5E
	v_fma_f32 v160, v8, v4, v160                               // 00000000E468: D1CB00A0 06820908
	v_fma_f32 v161, v9, v4, v161                               // 00000000E470: D1CB00A1 06860909
	v_fma_f32 v162, v10, v4, v162                              // 00000000E478: D1CB00A2 068A090A
	v_fma_f32 v163, v11, v4, v163                              // 00000000E480: D1CB00A3 068E090B
	v_mul_f32_dpp v6, v28, v44 row_newbcast:1 row_mask:0xf bank_mask:0xf// 00000000E488: 0A0C58FA FF01511C
	v_mfma_f32_16x16x32_fp8_fp8 v[8:11], a[96:97], a[72:73], 0 // 00000000E490: D3F30008 1A029160
	s_add_u32 s60, 0x180, s80                                  // 00000000E498: 803C50FF 00000180
	s_cmp_lt_u32 s60, s81                                      // 00000000E4A0: BF0A513C
	s_cselect_b32 s57, s57, 0                                  // 00000000E4A4: 85398039
	s_cselect_b32 s3, s3, 0                                    // 00000000E4A8: 85038003
	v_mfma_f32_16x16x32_fp8_fp8 v[8:11], a[98:99], a[74:75], v[8:11]// 00000000E4AC: D3F30008 1C229562
	s_add_u32 s60, 0x100, s80                                  // 00000000E4B4: 803C50FF 00000100
	s_cmp_lt_u32 s60, s81                                      // 00000000E4BC: BF0A513C
	s_cselect_b32 s58, s58, 0                                  // 00000000E4C0: 853A803A
	v_mfma_f32_16x16x32_fp8_fp8 v[8:11], a[100:101], a[76:77], v[8:11]// 00000000E4C4: D3F30008 1C229964
	s_add_u32 s60, 0x100, s80                                  // 00000000E4CC: 803C50FF 00000100
	s_cmp_lt_u32 s60, s81                                      // 00000000E4D4: BF0A513C
	s_cselect_b32 s83, s83, 0                                  // 00000000E4D8: 85538053
	s_cselect_b32 s4, s4, 0                                    // 00000000E4DC: 85048004
	v_mfma_f32_16x16x32_fp8_fp8 v[8:11], a[102:103], a[78:79], v[8:11]// 00000000E4E0: D3F30008 1C229D66
	s_add_u32 s24, s58, s24                                    // 00000000E4E8: 8018183A
	s_addc_u32 s25, 0, s25                                     // 00000000E4EC: 82191980
	v_fma_f32 v180, v12, v4, v180                              // 00000000E4F0: D1CB00B4 06D2090C
	v_fma_f32 v181, v13, v4, v181                              // 00000000E4F8: D1CB00B5 06D6090D
	v_fma_f32 v182, v14, v4, v182                              // 00000000E500: D1CB00B6 06DA090E
	v_fma_f32 v183, v15, v4, v183                              // 00000000E508: D1CB00B7 06DE090F
	v_mfma_f32_16x16x32_fp8_fp8 v[12:15], a[104:105], a[72:73], 0// 00000000E510: D3F3000C 1A029168
	s_add_u32 s20, s57, s20                                    // 00000000E518: 80141439
	s_addc_u32 s21, 0, s21                                     // 00000000E51C: 82151580
	s_add_u32 s28, s3, s28                                     // 00000000E520: 801C1C03
	s_addc_u32 s29, 0, s29                                     // 00000000E524: 821D1D80
	v_mfma_f32_16x16x32_fp8_fp8 v[12:15], a[106:107], a[74:75], v[12:15]// 00000000E528: D3F3000C 1C32956A
	s_add_u32 s84, s83, s84                                    // 00000000E530: 80545453
	s_addc_u32 s85, 0, s85                                     // 00000000E534: 82555580
	v_mfma_f32_16x16x32_fp8_fp8 v[12:15], a[108:109], a[76:77], v[12:15]// 00000000E538: D3F3000C 1C32996C
	s_add_u32 s32, s4, s32                                     // 00000000E540: 80202004
	s_addc_u32 s33, 0, s33                                     // 00000000E544: 82212180
	v_mfma_f32_16x16x32_fp8_fp8 v[12:15], a[110:111], a[78:79], v[12:15]// 00000000E548: D3F3000C 1C329D6E
	v_fma_f32 v200, v8, v6, v200                               // 00000000E550: D1CB00C8 07220D08
	v_fma_f32 v201, v9, v6, v201                               // 00000000E558: D1CB00C9 07260D09
	v_fma_f32 v202, v10, v6, v202                              // 00000000E560: D1CB00CA 072A0D0A
	v_fma_f32 v203, v11, v6, v203                              // 00000000E568: D1CB00CB 072E0D0B
	v_fma_f32 v220, v12, v6, v220                              // 00000000E570: D1CB00DC 07720D0C
	v_fma_f32 v221, v13, v6, v221                              // 00000000E578: D1CB00DD 07760D0D
	v_fma_f32 v222, v14, v6, v222                              // 00000000E580: D1CB00DE 077A0D0E
	v_fma_f32 v223, v15, v6, v223                              // 00000000E588: D1CB00DF 077E0D0F
	s_addk_i32 s80, 0x80                                       // 00000000E590: B7500080
	s_cmp_lt_i32 s80, s81                                      // 00000000E594: BF045150
	s_cbranch_scc0 label_3BA7                                  // 00000000E598: BF840CBD
	s_waitcnt vmcnt(24) lgkmcnt(0)                             // 00000000E59C: BF8C4078
	v_mul_f32_dpp v4, v26, v45 row_newbcast:0 row_mask:0xf bank_mask:0xf// 00000000E5A0: 0A085AFA FF01501A
	v_mfma_f32_16x16x32_fp8_fp8 v[8:11], a[112:113], a[0:1], 0 // 00000000E5A8: D3F30008 1A020170
	buffer_load_dword v24, v22, s[32:35], 0 offen              // 00000000E5B0: E0501000 80081816
	buffer_load_dwordx4 a[80:83], v60, s[24:27], 0 offen       // 00000000E5B8: E05C1000 8086503C
	v_mfma_f32_16x16x32_fp8_fp8 v[8:11], a[114:115], a[2:3], v[8:11]// 00000000E5C0: D3F30008 1C220572
	v_mfma_f32_16x16x32_fp8_fp8 v[8:11], a[116:117], a[4:5], v[8:11]// 00000000E5C8: D3F30008 1C220974
	v_mfma_f32_16x16x32_fp8_fp8 v[8:11], a[118:119], a[6:7], v[8:11]// 00000000E5D0: D3F30008 1C220D76
	v_mfma_f32_16x16x32_fp8_fp8 v[12:15], a[120:121], a[0:1], 0// 00000000E5D8: D3F3000C 1A020178
	buffer_load_dwordx4 a[84:87], v60, s[24:27], 0 offen offset:1024// 00000000E5E0: E05C1400 8086543C
	v_mfma_f32_16x16x32_fp8_fp8 v[12:15], a[122:123], a[2:3], v[12:15]// 00000000E5E8: D3F3000C 1C32057A
	v_mfma_f32_16x16x32_fp8_fp8 v[12:15], a[124:125], a[4:5], v[12:15]// 00000000E5F0: D3F3000C 1C32097C
	v_mfma_f32_16x16x32_fp8_fp8 v[12:15], a[126:127], a[6:7], v[12:15]// 00000000E5F8: D3F3000C 1C320D7E
	v_fma_f32 v64, v8, v4, v64                                 // 00000000E600: D1CB0040 05020908
	v_fma_f32 v65, v9, v4, v65                                 // 00000000E608: D1CB0041 05060909
	v_fma_f32 v66, v10, v4, v66                                // 00000000E610: D1CB0042 050A090A
	v_fma_f32 v67, v11, v4, v67                                // 00000000E618: D1CB0043 050E090B
	v_mul_f32_dpp v6, v26, v45 row_newbcast:1 row_mask:0xf bank_mask:0xf// 00000000E620: 0A0C5AFA FF01511A
	v_mfma_f32_16x16x32_fp8_fp8 v[8:11], a[128:129], a[0:1], 0 // 00000000E628: D3F30008 1A020180
	buffer_load_dwordx4 a[88:91], v61, s[24:27], 0 offen       // 00000000E630: E05C1000 8086583D
	v_mfma_f32_16x16x32_fp8_fp8 v[8:11], a[130:131], a[2:3], v[8:11]// 00000000E638: D3F30008 1C220582
	v_mfma_f32_16x16x32_fp8_fp8 v[8:11], a[132:133], a[4:5], v[8:11]// 00000000E640: D3F30008 1C220984
	v_mfma_f32_16x16x32_fp8_fp8 v[8:11], a[134:135], a[6:7], v[8:11]// 00000000E648: D3F30008 1C220D86
	v_fma_f32 v84, v12, v4, v84                                // 00000000E650: D1CB0054 0552090C
	v_fma_f32 v85, v13, v4, v85                                // 00000000E658: D1CB0055 0556090D
	v_fma_f32 v86, v14, v4, v86                                // 00000000E660: D1CB0056 055A090E
	v_fma_f32 v87, v15, v4, v87                                // 00000000E668: D1CB0057 055E090F
	v_mfma_f32_16x16x32_fp8_fp8 v[12:15], a[136:137], a[0:1], 0// 00000000E670: D3F3000C 1A020188
	buffer_load_dwordx4 a[92:95], v61, s[24:27], 0 offen offset:1024// 00000000E678: E05C1400 80865C3D
	v_mfma_f32_16x16x32_fp8_fp8 v[12:15], a[138:139], a[2:3], v[12:15]// 00000000E680: D3F3000C 1C32058A
	v_mfma_f32_16x16x32_fp8_fp8 v[12:15], a[140:141], a[4:5], v[12:15]// 00000000E688: D3F3000C 1C32098C
	v_mfma_f32_16x16x32_fp8_fp8 v[12:15], a[142:143], a[6:7], v[12:15]// 00000000E690: D3F3000C 1C320D8E
	v_fma_f32 v104, v8, v6, v104                               // 00000000E698: D1CB0068 05A20D08
	v_fma_f32 v105, v9, v6, v105                               // 00000000E6A0: D1CB0069 05A60D09
	v_fma_f32 v106, v10, v6, v106                              // 00000000E6A8: D1CB006A 05AA0D0A
	v_fma_f32 v107, v11, v6, v107                              // 00000000E6B0: D1CB006B 05AE0D0B
	v_mul_f32_dpp v4, v26, v46 row_newbcast:0 row_mask:0xf bank_mask:0xf// 00000000E6B8: 0A085CFA FF01501A
	v_mfma_f32_16x16x32_fp8_fp8 v[8:11], a[112:113], a[8:9], 0 // 00000000E6C0: D3F30008 1A021170
	buffer_load_dwordx4 a[96:99], v62, s[24:27], 0 offen       // 00000000E6C8: E05C1000 8086603E
	v_mfma_f32_16x16x32_fp8_fp8 v[8:11], a[114:115], a[10:11], v[8:11]// 00000000E6D0: D3F30008 1C221572
	v_mfma_f32_16x16x32_fp8_fp8 v[8:11], a[116:117], a[12:13], v[8:11]// 00000000E6D8: D3F30008 1C221974
	v_mfma_f32_16x16x32_fp8_fp8 v[8:11], a[118:119], a[14:15], v[8:11]// 00000000E6E0: D3F30008 1C221D76
	v_fma_f32 v124, v12, v6, v124                              // 00000000E6E8: D1CB007C 05F20D0C
	v_fma_f32 v125, v13, v6, v125                              // 00000000E6F0: D1CB007D 05F60D0D
	v_fma_f32 v126, v14, v6, v126                              // 00000000E6F8: D1CB007E 05FA0D0E
	v_fma_f32 v127, v15, v6, v127                              // 00000000E700: D1CB007F 05FE0D0F
	v_mfma_f32_16x16x32_fp8_fp8 v[12:15], a[120:121], a[8:9], 0// 00000000E708: D3F3000C 1A021178
	buffer_load_dwordx4 a[100:103], v62, s[24:27], 0 offen offset:1024// 00000000E710: E05C1400 8086643E
	v_mfma_f32_16x16x32_fp8_fp8 v[12:15], a[122:123], a[10:11], v[12:15]// 00000000E718: D3F3000C 1C32157A
	v_mfma_f32_16x16x32_fp8_fp8 v[12:15], a[124:125], a[12:13], v[12:15]// 00000000E720: D3F3000C 1C32197C
	v_mfma_f32_16x16x32_fp8_fp8 v[12:15], a[126:127], a[14:15], v[12:15]// 00000000E728: D3F3000C 1C321D7E
	v_fma_f32 v68, v8, v4, v68                                 // 00000000E730: D1CB0044 05120908
	v_fma_f32 v69, v9, v4, v69                                 // 00000000E738: D1CB0045 05160909
	v_fma_f32 v70, v10, v4, v70                                // 00000000E740: D1CB0046 051A090A
	v_fma_f32 v71, v11, v4, v71                                // 00000000E748: D1CB0047 051E090B
	v_mul_f32_dpp v6, v26, v46 row_newbcast:1 row_mask:0xf bank_mask:0xf// 00000000E750: 0A0C5CFA FF01511A
	v_mfma_f32_16x16x32_fp8_fp8 v[8:11], a[128:129], a[8:9], 0 // 00000000E758: D3F30008 1A021180
	buffer_load_dwordx4 a[104:107], v63, s[24:27], 0 offen     // 00000000E760: E05C1000 8086683F
	v_mfma_f32_16x16x32_fp8_fp8 v[8:11], a[130:131], a[10:11], v[8:11]// 00000000E768: D3F30008 1C221582
	v_mfma_f32_16x16x32_fp8_fp8 v[8:11], a[132:133], a[12:13], v[8:11]// 00000000E770: D3F30008 1C221984
	v_mfma_f32_16x16x32_fp8_fp8 v[8:11], a[134:135], a[14:15], v[8:11]// 00000000E778: D3F30008 1C221D86
	v_fma_f32 v88, v12, v4, v88                                // 00000000E780: D1CB0058 0562090C
	v_fma_f32 v89, v13, v4, v89                                // 00000000E788: D1CB0059 0566090D
	v_fma_f32 v90, v14, v4, v90                                // 00000000E790: D1CB005A 056A090E
	v_fma_f32 v91, v15, v4, v91                                // 00000000E798: D1CB005B 056E090F
	v_mfma_f32_16x16x32_fp8_fp8 v[12:15], a[136:137], a[8:9], 0// 00000000E7A0: D3F3000C 1A021188
	buffer_load_dwordx4 a[108:111], v63, s[24:27], 0 offen offset:1024// 00000000E7A8: E05C1400 80866C3F
	buffer_load_dword v50, s[20:23], 0 offen lds               // 00000000E7B0: E0511000 80050032
	s_add_u32 m0, 0x100, s49                                   // 00000000E7B8: 807C31FF 00000100
	v_mfma_f32_16x16x32_fp8_fp8 v[12:15], a[138:139], a[10:11], v[12:15]// 00000000E7C0: D3F3000C 1C32158A
	v_mfma_f32_16x16x32_fp8_fp8 v[12:15], a[140:141], a[12:13], v[12:15]// 00000000E7C8: D3F3000C 1C32198C
	buffer_load_dword v51, s[20:23], 0 offen lds               // 00000000E7D0: E0511000 80050033
	s_add_u32 m0, 0x200, s49                                   // 00000000E7D8: 807C31FF 00000200
	v_mfma_f32_16x16x32_fp8_fp8 v[12:15], a[142:143], a[14:15], v[12:15]// 00000000E7E0: D3F3000C 1C321D8E
	v_fma_f32 v108, v8, v6, v108                               // 00000000E7E8: D1CB006C 05B20D08
	v_fma_f32 v109, v9, v6, v109                               // 00000000E7F0: D1CB006D 05B60D09
	v_fma_f32 v110, v10, v6, v110                              // 00000000E7F8: D1CB006E 05BA0D0A
	v_fma_f32 v111, v11, v6, v111                              // 00000000E800: D1CB006F 05BE0D0B
	v_mul_f32_dpp v4, v26, v47 row_newbcast:0 row_mask:0xf bank_mask:0xf// 00000000E808: 0A085EFA FF01501A
	v_mfma_f32_16x16x32_fp8_fp8 v[8:11], a[112:113], a[16:17], 0// 00000000E810: D3F30008 1A022170
	buffer_load_dword v52, s[20:23], 0 offen lds               // 00000000E818: E0511000 80050034
	s_add_u32 m0, 0x300, s49                                   // 00000000E820: 807C31FF 00000300
	v_mfma_f32_16x16x32_fp8_fp8 v[8:11], a[114:115], a[18:19], v[8:11]// 00000000E828: D3F30008 1C222572
	v_mfma_f32_16x16x32_fp8_fp8 v[8:11], a[116:117], a[20:21], v[8:11]// 00000000E830: D3F30008 1C222974
	buffer_load_dword v53, s[20:23], 0 offen lds               // 00000000E838: E0511000 80050035
	s_add_u32 m0, 0x400, s49                                   // 00000000E840: 807C31FF 00000400
	v_mfma_f32_16x16x32_fp8_fp8 v[8:11], a[118:119], a[22:23], v[8:11]// 00000000E848: D3F30008 1C222D76
	v_fma_f32 v128, v12, v6, v128                              // 00000000E850: D1CB0080 06020D0C
	v_fma_f32 v129, v13, v6, v129                              // 00000000E858: D1CB0081 06060D0D
	v_fma_f32 v130, v14, v6, v130                              // 00000000E860: D1CB0082 060A0D0E
	v_fma_f32 v131, v15, v6, v131                              // 00000000E868: D1CB0083 060E0D0F
	v_mfma_f32_16x16x32_fp8_fp8 v[12:15], a[120:121], a[16:17], 0// 00000000E870: D3F3000C 1A022178
	buffer_load_dword v54, s[20:23], 0 offen lds               // 00000000E878: E0511000 80050036
	s_add_u32 m0, 0x500, s49                                   // 00000000E880: 807C31FF 00000500
	v_mfma_f32_16x16x32_fp8_fp8 v[12:15], a[122:123], a[18:19], v[12:15]// 00000000E888: D3F3000C 1C32257A
	v_mfma_f32_16x16x32_fp8_fp8 v[12:15], a[124:125], a[20:21], v[12:15]// 00000000E890: D3F3000C 1C32297C
	buffer_load_dword v55, s[20:23], 0 offen lds               // 00000000E898: E0511000 80050037
	s_add_u32 m0, 0x600, s49                                   // 00000000E8A0: 807C31FF 00000600
	v_mfma_f32_16x16x32_fp8_fp8 v[12:15], a[126:127], a[22:23], v[12:15]// 00000000E8A8: D3F3000C 1C322D7E
	v_fma_f32 v72, v8, v4, v72                                 // 00000000E8B0: D1CB0048 05220908
	v_fma_f32 v73, v9, v4, v73                                 // 00000000E8B8: D1CB0049 05260909
	v_fma_f32 v74, v10, v4, v74                                // 00000000E8C0: D1CB004A 052A090A
	v_fma_f32 v75, v11, v4, v75                                // 00000000E8C8: D1CB004B 052E090B
	v_mul_f32_dpp v6, v26, v47 row_newbcast:1 row_mask:0xf bank_mask:0xf// 00000000E8D0: 0A0C5EFA FF01511A
	v_mfma_f32_16x16x32_fp8_fp8 v[8:11], a[128:129], a[16:17], 0// 00000000E8D8: D3F30008 1A022180
	buffer_load_dword v56, s[20:23], 0 offen lds               // 00000000E8E0: E0511000 80050038
	s_add_u32 m0, 0x700, s49                                   // 00000000E8E8: 807C31FF 00000700
	v_mfma_f32_16x16x32_fp8_fp8 v[8:11], a[130:131], a[18:19], v[8:11]// 00000000E8F0: D3F30008 1C222582
	v_mfma_f32_16x16x32_fp8_fp8 v[8:11], a[132:133], a[20:21], v[8:11]// 00000000E8F8: D3F30008 1C222984
	buffer_load_dword v57, s[20:23], 0 offen lds               // 00000000E900: E0511000 80050039
	s_add_u32 m0, 0x800, s49                                   // 00000000E908: 807C31FF 00000800
	v_mfma_f32_16x16x32_fp8_fp8 v[8:11], a[134:135], a[22:23], v[8:11]// 00000000E910: D3F30008 1C222D86
	v_fma_f32 v92, v12, v4, v92                                // 00000000E918: D1CB005C 0572090C
	v_fma_f32 v93, v13, v4, v93                                // 00000000E920: D1CB005D 0576090D
	v_fma_f32 v94, v14, v4, v94                                // 00000000E928: D1CB005E 057A090E
	v_fma_f32 v95, v15, v4, v95                                // 00000000E930: D1CB005F 057E090F
	v_mfma_f32_16x16x32_fp8_fp8 v[12:15], a[136:137], a[16:17], 0// 00000000E938: D3F3000C 1A022188
	buffer_load_dword v58, s[20:23], 0 offen lds               // 00000000E940: E0511000 8005003A
	s_add_u32 m0, 0x900, s49                                   // 00000000E948: 807C31FF 00000900
	v_mfma_f32_16x16x32_fp8_fp8 v[12:15], a[138:139], a[18:19], v[12:15]// 00000000E950: D3F3000C 1C32258A
	v_mfma_f32_16x16x32_fp8_fp8 v[12:15], a[140:141], a[20:21], v[12:15]// 00000000E958: D3F3000C 1C32298C
	buffer_load_dword v59, s[20:23], 0 offen lds               // 00000000E960: E0511000 8005003B
	s_add_u32 m0, 0, s50                                       // 00000000E968: 807C3280
	v_mfma_f32_16x16x32_fp8_fp8 v[12:15], a[142:143], a[22:23], v[12:15]// 00000000E96C: D3F3000C 1C322D8E
	v_fma_f32 v112, v8, v6, v112                               // 00000000E974: D1CB0070 05C20D08
	v_fma_f32 v113, v9, v6, v113                               // 00000000E97C: D1CB0071 05C60D09
	v_fma_f32 v114, v10, v6, v114                              // 00000000E984: D1CB0072 05CA0D0A
	v_fma_f32 v115, v11, v6, v115                              // 00000000E98C: D1CB0073 05CE0D0B
	v_mul_f32_dpp v4, v26, v48 row_newbcast:0 row_mask:0xf bank_mask:0xf// 00000000E994: 0A0860FA FF01501A
	v_mfma_f32_16x16x32_fp8_fp8 v[8:11], a[112:113], a[24:25], 0// 00000000E99C: D3F30008 1A023170
	buffer_load_dword v40, v30, s[28:31], 0 offen              // 00000000E9A4: E0501000 8007281E
	v_mfma_f32_16x16x32_fp8_fp8 v[8:11], a[114:115], a[26:27], v[8:11]// 00000000E9AC: D3F30008 1C223572
	v_mfma_f32_16x16x32_fp8_fp8 v[8:11], a[116:117], a[28:29], v[8:11]// 00000000E9B4: D3F30008 1C223974
	buffer_load_dword v41, v31, s[28:31], 0 offen              // 00000000E9BC: E0501000 8007291F
	v_mfma_f32_16x16x32_fp8_fp8 v[8:11], a[118:119], a[30:31], v[8:11]// 00000000E9C4: D3F30008 1C223D76
	v_fma_f32 v132, v12, v6, v132                              // 00000000E9CC: D1CB0084 06120D0C
	v_fma_f32 v133, v13, v6, v133                              // 00000000E9D4: D1CB0085 06160D0D
	v_fma_f32 v134, v14, v6, v134                              // 00000000E9DC: D1CB0086 061A0D0E
	v_fma_f32 v135, v15, v6, v135                              // 00000000E9E4: D1CB0087 061E0D0F
	v_mfma_f32_16x16x32_fp8_fp8 v[12:15], a[120:121], a[24:25], 0// 00000000E9EC: D3F3000C 1A023178
	buffer_load_dword v42, v32, s[28:31], 0 offen              // 00000000E9F4: E0501000 80072A20
	v_mfma_f32_16x16x32_fp8_fp8 v[12:15], a[122:123], a[26:27], v[12:15]// 00000000E9FC: D3F3000C 1C32357A
	v_mfma_f32_16x16x32_fp8_fp8 v[12:15], a[124:125], a[28:29], v[12:15]// 00000000EA04: D3F3000C 1C32397C
	buffer_load_dword v43, v33, s[28:31], 0 offen              // 00000000EA0C: E0501000 80072B21
	v_mfma_f32_16x16x32_fp8_fp8 v[12:15], a[126:127], a[30:31], v[12:15]// 00000000EA14: D3F3000C 1C323D7E
	v_fma_f32 v76, v8, v4, v76                                 // 00000000EA1C: D1CB004C 05320908
	v_fma_f32 v77, v9, v4, v77                                 // 00000000EA24: D1CB004D 05360909
	v_fma_f32 v78, v10, v4, v78                                // 00000000EA2C: D1CB004E 053A090A
	v_fma_f32 v79, v11, v4, v79                                // 00000000EA34: D1CB004F 053E090B
	v_mul_f32_dpp v6, v26, v48 row_newbcast:1 row_mask:0xf bank_mask:0xf// 00000000EA3C: 0A0C60FA FF01511A
	v_mfma_f32_16x16x32_fp8_fp8 v[8:11], a[128:129], a[24:25], 0// 00000000EA44: D3F30008 1A023180
	buffer_load_dword v44, v34, s[28:31], 0 offen              // 00000000EA4C: E0501000 80072C22
	v_mfma_f32_16x16x32_fp8_fp8 v[8:11], a[130:131], a[26:27], v[8:11]// 00000000EA54: D3F30008 1C223582
	v_mfma_f32_16x16x32_fp8_fp8 v[8:11], a[132:133], a[28:29], v[8:11]// 00000000EA5C: D3F30008 1C223984
	v_mfma_f32_16x16x32_fp8_fp8 v[8:11], a[134:135], a[30:31], v[8:11]// 00000000EA64: D3F30008 1C223D86
	v_fma_f32 v96, v12, v4, v96                                // 00000000EA6C: D1CB0060 0582090C
	v_fma_f32 v97, v13, v4, v97                                // 00000000EA74: D1CB0061 0586090D
	v_fma_f32 v98, v14, v4, v98                                // 00000000EA7C: D1CB0062 058A090E
	v_fma_f32 v99, v15, v4, v99                                // 00000000EA84: D1CB0063 058E090F
	v_mfma_f32_16x16x32_fp8_fp8 v[12:15], a[136:137], a[24:25], 0// 00000000EA8C: D3F3000C 1A023188
	v_mfma_f32_16x16x32_fp8_fp8 v[12:15], a[138:139], a[26:27], v[12:15]// 00000000EA94: D3F3000C 1C32358A
	v_mfma_f32_16x16x32_fp8_fp8 v[12:15], a[140:141], a[28:29], v[12:15]// 00000000EA9C: D3F3000C 1C32398C
	v_mfma_f32_16x16x32_fp8_fp8 v[12:15], a[142:143], a[30:31], v[12:15]// 00000000EAA4: D3F3000C 1C323D8E
	v_fma_f32 v116, v8, v6, v116                               // 00000000EAAC: D1CB0074 05D20D08
	v_fma_f32 v117, v9, v6, v117                               // 00000000EAB4: D1CB0075 05D60D09
	v_fma_f32 v118, v10, v6, v118                              // 00000000EABC: D1CB0076 05DA0D0A
	v_fma_f32 v119, v11, v6, v119                              // 00000000EAC4: D1CB0077 05DE0D0B
	v_mul_f32_dpp v4, v26, v49 row_newbcast:0 row_mask:0xf bank_mask:0xf// 00000000EACC: 0A0862FA FF01501A
	v_mfma_f32_16x16x32_fp8_fp8 v[8:11], a[112:113], a[32:33], 0// 00000000EAD4: D3F30008 1A024170
	v_mfma_f32_16x16x32_fp8_fp8 v[8:11], a[114:115], a[34:35], v[8:11]// 00000000EADC: D3F30008 1C224572
	v_mfma_f32_16x16x32_fp8_fp8 v[8:11], a[116:117], a[36:37], v[8:11]// 00000000EAE4: D3F30008 1C224974
	v_mfma_f32_16x16x32_fp8_fp8 v[8:11], a[118:119], a[38:39], v[8:11]// 00000000EAEC: D3F30008 1C224D76
	v_fma_f32 v136, v12, v6, v136                              // 00000000EAF4: D1CB0088 06220D0C
	v_fma_f32 v137, v13, v6, v137                              // 00000000EAFC: D1CB0089 06260D0D
	v_fma_f32 v138, v14, v6, v138                              // 00000000EB04: D1CB008A 062A0D0E
	v_fma_f32 v139, v15, v6, v139                              // 00000000EB0C: D1CB008B 062E0D0F
	v_mfma_f32_16x16x32_fp8_fp8 v[12:15], a[120:121], a[32:33], 0// 00000000EB14: D3F3000C 1A024178
	v_mfma_f32_16x16x32_fp8_fp8 v[12:15], a[122:123], a[34:35], v[12:15]// 00000000EB1C: D3F3000C 1C32457A
	v_mfma_f32_16x16x32_fp8_fp8 v[12:15], a[124:125], a[36:37], v[12:15]// 00000000EB24: D3F3000C 1C32497C
	v_mfma_f32_16x16x32_fp8_fp8 v[12:15], a[126:127], a[38:39], v[12:15]// 00000000EB2C: D3F3000C 1C324D7E
	v_fma_f32 v80, v8, v4, v80                                 // 00000000EB34: D1CB0050 05420908
	v_fma_f32 v81, v9, v4, v81                                 // 00000000EB3C: D1CB0051 05460909
	v_fma_f32 v82, v10, v4, v82                                // 00000000EB44: D1CB0052 054A090A
	v_fma_f32 v83, v11, v4, v83                                // 00000000EB4C: D1CB0053 054E090B
	v_mul_f32_dpp v6, v26, v49 row_newbcast:1 row_mask:0xf bank_mask:0xf// 00000000EB54: 0A0C62FA FF01511A
	v_mfma_f32_16x16x32_fp8_fp8 v[8:11], a[128:129], a[32:33], 0// 00000000EB5C: D3F30008 1A024180
	v_mfma_f32_16x16x32_fp8_fp8 v[8:11], a[130:131], a[34:35], v[8:11]// 00000000EB64: D3F30008 1C224582
	v_mfma_f32_16x16x32_fp8_fp8 v[8:11], a[132:133], a[36:37], v[8:11]// 00000000EB6C: D3F30008 1C224984
	v_mfma_f32_16x16x32_fp8_fp8 v[8:11], a[134:135], a[38:39], v[8:11]// 00000000EB74: D3F30008 1C224D86
	v_fma_f32 v100, v12, v4, v100                              // 00000000EB7C: D1CB0064 0592090C
	v_fma_f32 v101, v13, v4, v101                              // 00000000EB84: D1CB0065 0596090D
	v_fma_f32 v102, v14, v4, v102                              // 00000000EB8C: D1CB0066 059A090E
	v_fma_f32 v103, v15, v4, v103                              // 00000000EB94: D1CB0067 059E090F
	v_mfma_f32_16x16x32_fp8_fp8 v[12:15], a[136:137], a[32:33], 0// 00000000EB9C: D3F3000C 1A024188
	v_mfma_f32_16x16x32_fp8_fp8 v[12:15], a[138:139], a[34:35], v[12:15]// 00000000EBA4: D3F3000C 1C32458A
	v_mfma_f32_16x16x32_fp8_fp8 v[12:15], a[140:141], a[36:37], v[12:15]// 00000000EBAC: D3F3000C 1C32498C
	v_mfma_f32_16x16x32_fp8_fp8 v[12:15], a[142:143], a[38:39], v[12:15]// 00000000EBB4: D3F3000C 1C324D8E
	v_fma_f32 v120, v8, v6, v120                               // 00000000EBBC: D1CB0078 05E20D08
	v_fma_f32 v121, v9, v6, v121                               // 00000000EBC4: D1CB0079 05E60D09
	v_fma_f32 v122, v10, v6, v122                              // 00000000EBCC: D1CB007A 05EA0D0A
	v_fma_f32 v123, v11, v6, v123                              // 00000000EBD4: D1CB007B 05EE0D0B
	v_fma_f32 v140, v12, v6, v140                              // 00000000EBDC: D1CB008C 06320D0C
	v_fma_f32 v141, v13, v6, v141                              // 00000000EBE4: D1CB008D 06360D0D
	v_fma_f32 v142, v14, v6, v142                              // 00000000EBEC: D1CB008E 063A0D0E
	v_fma_f32 v143, v15, v6, v143                              // 00000000EBF4: D1CB008F 063E0D0F
	s_waitcnt vmcnt(24)                                        // 00000000EBFC: BF8C4F78
	s_barrier                                                  // 00000000EC00: BF8A0000
	v_mul_f32_dpp v4, v29, v45 row_newbcast:0 row_mask:0xf bank_mask:0xf// 00000000EC04: 0A085AFA FF01501D
	v_mfma_f32_16x16x32_fp8_fp8 v[8:11], a[144:145], a[0:1], 0 // 00000000EC0C: D3F30008 1A020190
	buffer_load_dword v27, v23, s[32:35], 0 offen              // 00000000EC14: E0501000 80081B17
	buffer_load_dwordx4 a[112:115], v60, s[84:87], 0 offen     // 00000000EC1C: E05C1000 8095703C
	v_mfma_f32_16x16x32_fp8_fp8 v[8:11], a[146:147], a[2:3], v[8:11]// 00000000EC24: D3F30008 1C220592
	v_mfma_f32_16x16x32_fp8_fp8 v[8:11], a[148:149], a[4:5], v[8:11]// 00000000EC2C: D3F30008 1C220994
	ds_read_b128 a[40:43], v2                                  // 00000000EC34: DBFE0000 28000002
	ds_read_b128 a[44:47], v2 offset:64                        // 00000000EC3C: DBFE0040 2C000002
	v_mfma_f32_16x16x32_fp8_fp8 v[8:11], a[150:151], a[6:7], v[8:11]// 00000000EC44: D3F30008 1C220D96
	v_mfma_f32_16x16x32_fp8_fp8 v[12:15], a[152:153], a[0:1], 0// 00000000EC4C: D3F3000C 1A020198
	buffer_load_dwordx4 a[116:119], v60, s[84:87], 0 offen offset:1024// 00000000EC54: E05C1400 8095743C
	v_mfma_f32_16x16x32_fp8_fp8 v[12:15], a[154:155], a[2:3], v[12:15]// 00000000EC5C: D3F3000C 1C32059A
	v_mfma_f32_16x16x32_fp8_fp8 v[12:15], a[156:157], a[4:5], v[12:15]// 00000000EC64: D3F3000C 1C32099C
	ds_read_b128 a[48:51], v2 offset:512                       // 00000000EC6C: DBFE0200 30000002
	ds_read_b128 a[52:55], v2 offset:576                       // 00000000EC74: DBFE0240 34000002
	v_mfma_f32_16x16x32_fp8_fp8 v[12:15], a[158:159], a[6:7], v[12:15]// 00000000EC7C: D3F3000C 1C320D9E
	v_fma_f32 v144, v8, v4, v144                               // 00000000EC84: D1CB0090 06420908
	v_fma_f32 v145, v9, v4, v145                               // 00000000EC8C: D1CB0091 06460909
	v_fma_f32 v146, v10, v4, v146                              // 00000000EC94: D1CB0092 064A090A
	v_fma_f32 v147, v11, v4, v147                              // 00000000EC9C: D1CB0093 064E090B
	v_mul_f32_dpp v6, v29, v45 row_newbcast:1 row_mask:0xf bank_mask:0xf// 00000000ECA4: 0A0C5AFA FF01511D
	v_mfma_f32_16x16x32_fp8_fp8 v[8:11], a[160:161], a[0:1], 0 // 00000000ECAC: D3F30008 1A0201A0
	buffer_load_dwordx4 a[120:123], v61, s[84:87], 0 offen     // 00000000ECB4: E05C1000 8095783D
	v_mfma_f32_16x16x32_fp8_fp8 v[8:11], a[162:163], a[2:3], v[8:11]// 00000000ECBC: D3F30008 1C2205A2
	v_mfma_f32_16x16x32_fp8_fp8 v[8:11], a[164:165], a[4:5], v[8:11]// 00000000ECC4: D3F30008 1C2209A4
	ds_read_b128 a[56:59], v2 offset:1024                      // 00000000ECCC: DBFE0400 38000002
	ds_read_b128 a[60:63], v2 offset:1088                      // 00000000ECD4: DBFE0440 3C000002
	v_mfma_f32_16x16x32_fp8_fp8 v[8:11], a[166:167], a[6:7], v[8:11]// 00000000ECDC: D3F30008 1C220DA6
	v_fma_f32 v164, v12, v4, v164                              // 00000000ECE4: D1CB00A4 0692090C
	v_fma_f32 v165, v13, v4, v165                              // 00000000ECEC: D1CB00A5 0696090D
	v_fma_f32 v166, v14, v4, v166                              // 00000000ECF4: D1CB00A6 069A090E
	v_fma_f32 v167, v15, v4, v167                              // 00000000ECFC: D1CB00A7 069E090F
	v_mfma_f32_16x16x32_fp8_fp8 v[12:15], a[168:169], a[0:1], 0// 00000000ED04: D3F3000C 1A0201A8
	buffer_load_dwordx4 a[124:127], v61, s[84:87], 0 offen offset:1024// 00000000ED0C: E05C1400 80957C3D
	v_mfma_f32_16x16x32_fp8_fp8 v[12:15], a[170:171], a[2:3], v[12:15]// 00000000ED14: D3F3000C 1C3205AA
	v_mfma_f32_16x16x32_fp8_fp8 v[12:15], a[172:173], a[4:5], v[12:15]// 00000000ED1C: D3F3000C 1C3209AC
	ds_read_b128 a[64:67], v2 offset:1536                      // 00000000ED24: DBFE0600 40000002
	ds_read_b128 a[68:71], v2 offset:1600                      // 00000000ED2C: DBFE0640 44000002
	v_mfma_f32_16x16x32_fp8_fp8 v[12:15], a[174:175], a[6:7], v[12:15]// 00000000ED34: D3F3000C 1C320DAE
	v_fma_f32 v184, v8, v6, v184                               // 00000000ED3C: D1CB00B8 06E20D08
	v_fma_f32 v185, v9, v6, v185                               // 00000000ED44: D1CB00B9 06E60D09
	v_fma_f32 v186, v10, v6, v186                              // 00000000ED4C: D1CB00BA 06EA0D0A
	v_fma_f32 v187, v11, v6, v187                              // 00000000ED54: D1CB00BB 06EE0D0B
	v_mul_f32_dpp v4, v29, v46 row_newbcast:0 row_mask:0xf bank_mask:0xf// 00000000ED5C: 0A085CFA FF01501D
	v_mfma_f32_16x16x32_fp8_fp8 v[8:11], a[144:145], a[8:9], 0 // 00000000ED64: D3F30008 1A021190
	buffer_load_dwordx4 a[128:131], v62, s[84:87], 0 offen     // 00000000ED6C: E05C1000 8095803E
	v_mfma_f32_16x16x32_fp8_fp8 v[8:11], a[146:147], a[10:11], v[8:11]// 00000000ED74: D3F30008 1C221592
	v_mfma_f32_16x16x32_fp8_fp8 v[8:11], a[148:149], a[12:13], v[8:11]// 00000000ED7C: D3F30008 1C221994
	ds_read_b128 a[72:75], v2 offset:2048                      // 00000000ED84: DBFE0800 48000002
	ds_read_b128 a[76:79], v2 offset:2112                      // 00000000ED8C: DBFE0840 4C000002
	v_mfma_f32_16x16x32_fp8_fp8 v[8:11], a[150:151], a[14:15], v[8:11]// 00000000ED94: D3F30008 1C221D96
	v_fma_f32 v204, v12, v6, v204                              // 00000000ED9C: D1CB00CC 07320D0C
	v_fma_f32 v205, v13, v6, v205                              // 00000000EDA4: D1CB00CD 07360D0D
	v_fma_f32 v206, v14, v6, v206                              // 00000000EDAC: D1CB00CE 073A0D0E
	v_fma_f32 v207, v15, v6, v207                              // 00000000EDB4: D1CB00CF 073E0D0F
	v_mfma_f32_16x16x32_fp8_fp8 v[12:15], a[152:153], a[8:9], 0// 00000000EDBC: D3F3000C 1A021198
	buffer_load_dwordx4 a[132:135], v62, s[84:87], 0 offen offset:1024// 00000000EDC4: E05C1400 8095843E
	v_mfma_f32_16x16x32_fp8_fp8 v[12:15], a[154:155], a[10:11], v[12:15]// 00000000EDCC: D3F3000C 1C32159A
	v_mfma_f32_16x16x32_fp8_fp8 v[12:15], a[156:157], a[12:13], v[12:15]// 00000000EDD4: D3F3000C 1C32199C
	v_mfma_f32_16x16x32_fp8_fp8 v[12:15], a[158:159], a[14:15], v[12:15]// 00000000EDDC: D3F3000C 1C321D9E
	v_fma_f32 v148, v8, v4, v148                               // 00000000EDE4: D1CB0094 06520908
	v_fma_f32 v149, v9, v4, v149                               // 00000000EDEC: D1CB0095 06560909
	v_fma_f32 v150, v10, v4, v150                              // 00000000EDF4: D1CB0096 065A090A
	v_fma_f32 v151, v11, v4, v151                              // 00000000EDFC: D1CB0097 065E090B
	v_mul_f32_dpp v6, v29, v46 row_newbcast:1 row_mask:0xf bank_mask:0xf// 00000000EE04: 0A0C5CFA FF01511D
	v_mfma_f32_16x16x32_fp8_fp8 v[8:11], a[160:161], a[8:9], 0 // 00000000EE0C: D3F30008 1A0211A0
	buffer_load_dwordx4 a[136:139], v63, s[84:87], 0 offen     // 00000000EE14: E05C1000 8095883F
	v_mfma_f32_16x16x32_fp8_fp8 v[8:11], a[162:163], a[10:11], v[8:11]// 00000000EE1C: D3F30008 1C2215A2
	v_mfma_f32_16x16x32_fp8_fp8 v[8:11], a[164:165], a[12:13], v[8:11]// 00000000EE24: D3F30008 1C2219A4
	v_mfma_f32_16x16x32_fp8_fp8 v[8:11], a[166:167], a[14:15], v[8:11]// 00000000EE2C: D3F30008 1C221DA6
	v_fma_f32 v168, v12, v4, v168                              // 00000000EE34: D1CB00A8 06A2090C
	v_fma_f32 v169, v13, v4, v169                              // 00000000EE3C: D1CB00A9 06A6090D
	v_fma_f32 v170, v14, v4, v170                              // 00000000EE44: D1CB00AA 06AA090E
	v_fma_f32 v171, v15, v4, v171                              // 00000000EE4C: D1CB00AB 06AE090F
	v_mfma_f32_16x16x32_fp8_fp8 v[12:15], a[168:169], a[8:9], 0// 00000000EE54: D3F3000C 1A0211A8
	buffer_load_dwordx4 a[140:143], v63, s[84:87], 0 offen offset:1024// 00000000EE5C: E05C1400 80958C3F
	v_mfma_f32_16x16x32_fp8_fp8 v[12:15], a[170:171], a[10:11], v[12:15]// 00000000EE64: D3F3000C 1C3215AA
	v_mfma_f32_16x16x32_fp8_fp8 v[12:15], a[172:173], a[12:13], v[12:15]// 00000000EE6C: D3F3000C 1C3219AC
	v_mfma_f32_16x16x32_fp8_fp8 v[12:15], a[174:175], a[14:15], v[12:15]// 00000000EE74: D3F3000C 1C321DAE
	v_fma_f32 v188, v8, v6, v188                               // 00000000EE7C: D1CB00BC 06F20D08
	v_fma_f32 v189, v9, v6, v189                               // 00000000EE84: D1CB00BD 06F60D09
	v_fma_f32 v190, v10, v6, v190                              // 00000000EE8C: D1CB00BE 06FA0D0A
	v_fma_f32 v191, v11, v6, v191                              // 00000000EE94: D1CB00BF 06FE0D0B
	v_mul_f32_dpp v4, v29, v47 row_newbcast:0 row_mask:0xf bank_mask:0xf// 00000000EE9C: 0A085EFA FF01501D
	v_mfma_f32_16x16x32_fp8_fp8 v[8:11], a[144:145], a[16:17], 0// 00000000EEA4: D3F30008 1A022190
	v_mfma_f32_16x16x32_fp8_fp8 v[8:11], a[146:147], a[18:19], v[8:11]// 00000000EEAC: D3F30008 1C222592
	v_mfma_f32_16x16x32_fp8_fp8 v[8:11], a[148:149], a[20:21], v[8:11]// 00000000EEB4: D3F30008 1C222994
	v_mfma_f32_16x16x32_fp8_fp8 v[8:11], a[150:151], a[22:23], v[8:11]// 00000000EEBC: D3F30008 1C222D96
	v_fma_f32 v208, v12, v6, v208                              // 00000000EEC4: D1CB00D0 07420D0C
	v_fma_f32 v209, v13, v6, v209                              // 00000000EECC: D1CB00D1 07460D0D
	v_fma_f32 v210, v14, v6, v210                              // 00000000EED4: D1CB00D2 074A0D0E
	v_fma_f32 v211, v15, v6, v211                              // 00000000EEDC: D1CB00D3 074E0D0F
	v_mfma_f32_16x16x32_fp8_fp8 v[12:15], a[152:153], a[16:17], 0// 00000000EEE4: D3F3000C 1A022198
	v_mfma_f32_16x16x32_fp8_fp8 v[12:15], a[154:155], a[18:19], v[12:15]// 00000000EEEC: D3F3000C 1C32259A
	v_mfma_f32_16x16x32_fp8_fp8 v[12:15], a[156:157], a[20:21], v[12:15]// 00000000EEF4: D3F3000C 1C32299C
	v_mfma_f32_16x16x32_fp8_fp8 v[12:15], a[158:159], a[22:23], v[12:15]// 00000000EEFC: D3F3000C 1C322D9E
	v_fma_f32 v152, v8, v4, v152                               // 00000000EF04: D1CB0098 06620908
	v_fma_f32 v153, v9, v4, v153                               // 00000000EF0C: D1CB0099 06660909
	v_fma_f32 v154, v10, v4, v154                              // 00000000EF14: D1CB009A 066A090A
	v_fma_f32 v155, v11, v4, v155                              // 00000000EF1C: D1CB009B 066E090B
	v_mul_f32_dpp v6, v29, v47 row_newbcast:1 row_mask:0xf bank_mask:0xf// 00000000EF24: 0A0C5EFA FF01511D
	v_mfma_f32_16x16x32_fp8_fp8 v[8:11], a[160:161], a[16:17], 0// 00000000EF2C: D3F30008 1A0221A0
	v_mfma_f32_16x16x32_fp8_fp8 v[8:11], a[162:163], a[18:19], v[8:11]// 00000000EF34: D3F30008 1C2225A2
	v_mfma_f32_16x16x32_fp8_fp8 v[8:11], a[164:165], a[20:21], v[8:11]// 00000000EF3C: D3F30008 1C2229A4
	v_mfma_f32_16x16x32_fp8_fp8 v[8:11], a[166:167], a[22:23], v[8:11]// 00000000EF44: D3F30008 1C222DA6
	v_fma_f32 v172, v12, v4, v172                              // 00000000EF4C: D1CB00AC 06B2090C
	v_fma_f32 v173, v13, v4, v173                              // 00000000EF54: D1CB00AD 06B6090D
	v_fma_f32 v174, v14, v4, v174                              // 00000000EF5C: D1CB00AE 06BA090E
	v_fma_f32 v175, v15, v4, v175                              // 00000000EF64: D1CB00AF 06BE090F
	v_mfma_f32_16x16x32_fp8_fp8 v[12:15], a[168:169], a[16:17], 0// 00000000EF6C: D3F3000C 1A0221A8
	v_mfma_f32_16x16x32_fp8_fp8 v[12:15], a[170:171], a[18:19], v[12:15]// 00000000EF74: D3F3000C 1C3225AA
	v_mfma_f32_16x16x32_fp8_fp8 v[12:15], a[172:173], a[20:21], v[12:15]// 00000000EF7C: D3F3000C 1C3229AC
	v_mfma_f32_16x16x32_fp8_fp8 v[12:15], a[174:175], a[22:23], v[12:15]// 00000000EF84: D3F3000C 1C322DAE
	v_fma_f32 v192, v8, v6, v192                               // 00000000EF8C: D1CB00C0 07020D08
	v_fma_f32 v193, v9, v6, v193                               // 00000000EF94: D1CB00C1 07060D09
	v_fma_f32 v194, v10, v6, v194                              // 00000000EF9C: D1CB00C2 070A0D0A
	v_fma_f32 v195, v11, v6, v195                              // 00000000EFA4: D1CB00C3 070E0D0B
	v_mul_f32_dpp v4, v29, v48 row_newbcast:0 row_mask:0xf bank_mask:0xf// 00000000EFAC: 0A0860FA FF01501D
	v_mfma_f32_16x16x32_fp8_fp8 v[8:11], a[144:145], a[24:25], 0// 00000000EFB4: D3F30008 1A023190
	v_mfma_f32_16x16x32_fp8_fp8 v[8:11], a[146:147], a[26:27], v[8:11]// 00000000EFBC: D3F30008 1C223592
	v_mfma_f32_16x16x32_fp8_fp8 v[8:11], a[148:149], a[28:29], v[8:11]// 00000000EFC4: D3F30008 1C223994
	v_mfma_f32_16x16x32_fp8_fp8 v[8:11], a[150:151], a[30:31], v[8:11]// 00000000EFCC: D3F30008 1C223D96
	v_fma_f32 v212, v12, v6, v212                              // 00000000EFD4: D1CB00D4 07520D0C
	v_fma_f32 v213, v13, v6, v213                              // 00000000EFDC: D1CB00D5 07560D0D
	v_fma_f32 v214, v14, v6, v214                              // 00000000EFE4: D1CB00D6 075A0D0E
	v_fma_f32 v215, v15, v6, v215                              // 00000000EFEC: D1CB00D7 075E0D0F
	v_mfma_f32_16x16x32_fp8_fp8 v[12:15], a[152:153], a[24:25], 0// 00000000EFF4: D3F3000C 1A023198
	v_mfma_f32_16x16x32_fp8_fp8 v[12:15], a[154:155], a[26:27], v[12:15]// 00000000EFFC: D3F3000C 1C32359A
	v_mfma_f32_16x16x32_fp8_fp8 v[12:15], a[156:157], a[28:29], v[12:15]// 00000000F004: D3F3000C 1C32399C
	v_mfma_f32_16x16x32_fp8_fp8 v[12:15], a[158:159], a[30:31], v[12:15]// 00000000F00C: D3F3000C 1C323D9E
	v_fma_f32 v156, v8, v4, v156                               // 00000000F014: D1CB009C 06720908
	v_fma_f32 v157, v9, v4, v157                               // 00000000F01C: D1CB009D 06760909
	v_fma_f32 v158, v10, v4, v158                              // 00000000F024: D1CB009E 067A090A
	v_fma_f32 v159, v11, v4, v159                              // 00000000F02C: D1CB009F 067E090B
	v_mul_f32_dpp v6, v29, v48 row_newbcast:1 row_mask:0xf bank_mask:0xf// 00000000F034: 0A0C60FA FF01511D
	v_mfma_f32_16x16x32_fp8_fp8 v[8:11], a[160:161], a[24:25], 0// 00000000F03C: D3F30008 1A0231A0
	v_mfma_f32_16x16x32_fp8_fp8 v[8:11], a[162:163], a[26:27], v[8:11]// 00000000F044: D3F30008 1C2235A2
	v_mfma_f32_16x16x32_fp8_fp8 v[8:11], a[164:165], a[28:29], v[8:11]// 00000000F04C: D3F30008 1C2239A4
	v_mfma_f32_16x16x32_fp8_fp8 v[8:11], a[166:167], a[30:31], v[8:11]// 00000000F054: D3F30008 1C223DA6
	v_fma_f32 v176, v12, v4, v176                              // 00000000F05C: D1CB00B0 06C2090C
	v_fma_f32 v177, v13, v4, v177                              // 00000000F064: D1CB00B1 06C6090D
	v_fma_f32 v178, v14, v4, v178                              // 00000000F06C: D1CB00B2 06CA090E
	v_fma_f32 v179, v15, v4, v179                              // 00000000F074: D1CB00B3 06CE090F
	v_mfma_f32_16x16x32_fp8_fp8 v[12:15], a[168:169], a[24:25], 0// 00000000F07C: D3F3000C 1A0231A8
	v_mfma_f32_16x16x32_fp8_fp8 v[12:15], a[170:171], a[26:27], v[12:15]// 00000000F084: D3F3000C 1C3235AA
	v_mfma_f32_16x16x32_fp8_fp8 v[12:15], a[172:173], a[28:29], v[12:15]// 00000000F08C: D3F3000C 1C3239AC
	v_mfma_f32_16x16x32_fp8_fp8 v[12:15], a[174:175], a[30:31], v[12:15]// 00000000F094: D3F3000C 1C323DAE
	v_fma_f32 v196, v8, v6, v196                               // 00000000F09C: D1CB00C4 07120D08
	v_fma_f32 v197, v9, v6, v197                               // 00000000F0A4: D1CB00C5 07160D09
	v_fma_f32 v198, v10, v6, v198                              // 00000000F0AC: D1CB00C6 071A0D0A
	v_fma_f32 v199, v11, v6, v199                              // 00000000F0B4: D1CB00C7 071E0D0B
	v_mul_f32_dpp v4, v29, v49 row_newbcast:0 row_mask:0xf bank_mask:0xf// 00000000F0BC: 0A0862FA FF01501D
	v_mfma_f32_16x16x32_fp8_fp8 v[8:11], a[144:145], a[32:33], 0// 00000000F0C4: D3F30008 1A024190
	v_mfma_f32_16x16x32_fp8_fp8 v[8:11], a[146:147], a[34:35], v[8:11]// 00000000F0CC: D3F30008 1C224592
	v_mfma_f32_16x16x32_fp8_fp8 v[8:11], a[148:149], a[36:37], v[8:11]// 00000000F0D4: D3F30008 1C224994
	v_mfma_f32_16x16x32_fp8_fp8 v[8:11], a[150:151], a[38:39], v[8:11]// 00000000F0DC: D3F30008 1C224D96
	v_fma_f32 v216, v12, v6, v216                              // 00000000F0E4: D1CB00D8 07620D0C
	v_fma_f32 v217, v13, v6, v217                              // 00000000F0EC: D1CB00D9 07660D0D
	v_fma_f32 v218, v14, v6, v218                              // 00000000F0F4: D1CB00DA 076A0D0E
	v_fma_f32 v219, v15, v6, v219                              // 00000000F0FC: D1CB00DB 076E0D0F
	v_mfma_f32_16x16x32_fp8_fp8 v[12:15], a[152:153], a[32:33], 0// 00000000F104: D3F3000C 1A024198
	v_mfma_f32_16x16x32_fp8_fp8 v[12:15], a[154:155], a[34:35], v[12:15]// 00000000F10C: D3F3000C 1C32459A
	v_mfma_f32_16x16x32_fp8_fp8 v[12:15], a[156:157], a[36:37], v[12:15]// 00000000F114: D3F3000C 1C32499C
	v_mfma_f32_16x16x32_fp8_fp8 v[12:15], a[158:159], a[38:39], v[12:15]// 00000000F11C: D3F3000C 1C324D9E
	v_fma_f32 v160, v8, v4, v160                               // 00000000F124: D1CB00A0 06820908
	v_fma_f32 v161, v9, v4, v161                               // 00000000F12C: D1CB00A1 06860909
	v_fma_f32 v162, v10, v4, v162                              // 00000000F134: D1CB00A2 068A090A
	v_fma_f32 v163, v11, v4, v163                              // 00000000F13C: D1CB00A3 068E090B
	v_mul_f32_dpp v6, v29, v49 row_newbcast:1 row_mask:0xf bank_mask:0xf// 00000000F144: 0A0C62FA FF01511D
	v_mfma_f32_16x16x32_fp8_fp8 v[8:11], a[160:161], a[32:33], 0// 00000000F14C: D3F30008 1A0241A0
	s_add_u32 s60, 0x180, s80                                  // 00000000F154: 803C50FF 00000180
	s_cmp_lt_u32 s60, s81                                      // 00000000F15C: BF0A513C
	s_cselect_b32 s57, s57, 0                                  // 00000000F160: 85398039
	s_cselect_b32 s3, s3, 0                                    // 00000000F164: 85038003
	v_mfma_f32_16x16x32_fp8_fp8 v[8:11], a[162:163], a[34:35], v[8:11]// 00000000F168: D3F30008 1C2245A2
	s_add_u32 s60, 0x100, s80                                  // 00000000F170: 803C50FF 00000100
	s_cmp_lt_u32 s60, s81                                      // 00000000F178: BF0A513C
	s_cselect_b32 s58, s58, 0                                  // 00000000F17C: 853A803A
	v_mfma_f32_16x16x32_fp8_fp8 v[8:11], a[164:165], a[36:37], v[8:11]// 00000000F180: D3F30008 1C2249A4
	s_add_u32 s60, 0x100, s80                                  // 00000000F188: 803C50FF 00000100
	s_cmp_lt_u32 s60, s81                                      // 00000000F190: BF0A513C
	s_cselect_b32 s83, s83, 0                                  // 00000000F194: 85538053
	s_cselect_b32 s4, s4, 0                                    // 00000000F198: 85048004
	v_mfma_f32_16x16x32_fp8_fp8 v[8:11], a[166:167], a[38:39], v[8:11]// 00000000F19C: D3F30008 1C224DA6
	s_add_u32 s24, s58, s24                                    // 00000000F1A4: 8018183A
	s_addc_u32 s25, 0, s25                                     // 00000000F1A8: 82191980
	v_fma_f32 v180, v12, v4, v180                              // 00000000F1AC: D1CB00B4 06D2090C
	v_fma_f32 v181, v13, v4, v181                              // 00000000F1B4: D1CB00B5 06D6090D
	v_fma_f32 v182, v14, v4, v182                              // 00000000F1BC: D1CB00B6 06DA090E
	v_fma_f32 v183, v15, v4, v183                              // 00000000F1C4: D1CB00B7 06DE090F
	v_mfma_f32_16x16x32_fp8_fp8 v[12:15], a[168:169], a[32:33], 0// 00000000F1CC: D3F3000C 1A0241A8
	s_add_u32 s20, s57, s20                                    // 00000000F1D4: 80141439
	s_addc_u32 s21, 0, s21                                     // 00000000F1D8: 82151580
	s_add_u32 s28, s3, s28                                     // 00000000F1DC: 801C1C03
	s_addc_u32 s29, 0, s29                                     // 00000000F1E0: 821D1D80
	v_mfma_f32_16x16x32_fp8_fp8 v[12:15], a[170:171], a[34:35], v[12:15]// 00000000F1E4: D3F3000C 1C3245AA
	s_add_u32 s84, s83, s84                                    // 00000000F1EC: 80545453
	s_addc_u32 s85, 0, s85                                     // 00000000F1F0: 82555580
	v_mfma_f32_16x16x32_fp8_fp8 v[12:15], a[172:173], a[36:37], v[12:15]// 00000000F1F4: D3F3000C 1C3249AC
	s_add_u32 s32, s4, s32                                     // 00000000F1FC: 80202004
	s_addc_u32 s33, 0, s33                                     // 00000000F200: 82212180
	v_mfma_f32_16x16x32_fp8_fp8 v[12:15], a[174:175], a[38:39], v[12:15]// 00000000F204: D3F3000C 1C324DAE
	v_fma_f32 v200, v8, v6, v200                               // 00000000F20C: D1CB00C8 07220D08
	v_fma_f32 v201, v9, v6, v201                               // 00000000F214: D1CB00C9 07260D09
	v_fma_f32 v202, v10, v6, v202                              // 00000000F21C: D1CB00CA 072A0D0A
	v_fma_f32 v203, v11, v6, v203                              // 00000000F224: D1CB00CB 072E0D0B
	v_fma_f32 v220, v12, v6, v220                              // 00000000F22C: D1CB00DC 07720D0C
	v_fma_f32 v221, v13, v6, v221                              // 00000000F234: D1CB00DD 07760D0D
	v_fma_f32 v222, v14, v6, v222                              // 00000000F23C: D1CB00DE 077A0D0E
	v_fma_f32 v223, v15, v6, v223                              // 00000000F244: D1CB00DF 077E0D0F
	s_addk_i32 s80, 0x80                                       // 00000000F24C: B7500080
	s_cmp_lt_i32 s80, s81                                      // 00000000F250: BF045150
	s_cbranch_scc0 label_3BA7                                  // 00000000F254: BF84098E
	s_waitcnt vmcnt(24) lgkmcnt(0)                             // 00000000F258: BF8C4078
	v_mul_f32_dpp v4, v24, v35 row_newbcast:0 row_mask:0xf bank_mask:0xf// 00000000F25C: 0A0846FA FF015018
	v_mfma_f32_16x16x32_fp8_fp8 v[8:11], a[80:81], a[40:41], 0 // 00000000F264: D3F30008 1A025150
	buffer_load_dword v25, v22, s[32:35], 0 offen              // 00000000F26C: E0501000 80081916
	buffer_load_dwordx4 a[144:147], v60, s[24:27], 0 offen     // 00000000F274: E05C1000 8086903C
	v_mfma_f32_16x16x32_fp8_fp8 v[8:11], a[82:83], a[42:43], v[8:11]// 00000000F27C: D3F30008 1C225552
	v_mfma_f32_16x16x32_fp8_fp8 v[8:11], a[84:85], a[44:45], v[8:11]// 00000000F284: D3F30008 1C225954
	v_mfma_f32_16x16x32_fp8_fp8 v[8:11], a[86:87], a[46:47], v[8:11]// 00000000F28C: D3F30008 1C225D56
	v_mfma_f32_16x16x32_fp8_fp8 v[12:15], a[88:89], a[40:41], 0// 00000000F294: D3F3000C 1A025158
	buffer_load_dwordx4 a[148:151], v60, s[24:27], 0 offen offset:1024// 00000000F29C: E05C1400 8086943C
	v_mfma_f32_16x16x32_fp8_fp8 v[12:15], a[90:91], a[42:43], v[12:15]// 00000000F2A4: D3F3000C 1C32555A
	v_mfma_f32_16x16x32_fp8_fp8 v[12:15], a[92:93], a[44:45], v[12:15]// 00000000F2AC: D3F3000C 1C32595C
	v_mfma_f32_16x16x32_fp8_fp8 v[12:15], a[94:95], a[46:47], v[12:15]// 00000000F2B4: D3F3000C 1C325D5E
	v_fma_f32 v64, v8, v4, v64                                 // 00000000F2BC: D1CB0040 05020908
	v_fma_f32 v65, v9, v4, v65                                 // 00000000F2C4: D1CB0041 05060909
	v_fma_f32 v66, v10, v4, v66                                // 00000000F2CC: D1CB0042 050A090A
	v_fma_f32 v67, v11, v4, v67                                // 00000000F2D4: D1CB0043 050E090B
	v_mul_f32_dpp v6, v24, v35 row_newbcast:1 row_mask:0xf bank_mask:0xf// 00000000F2DC: 0A0C46FA FF015118
	v_mfma_f32_16x16x32_fp8_fp8 v[8:11], a[96:97], a[40:41], 0 // 00000000F2E4: D3F30008 1A025160
	buffer_load_dwordx4 a[152:155], v61, s[24:27], 0 offen     // 00000000F2EC: E05C1000 8086983D
	v_mfma_f32_16x16x32_fp8_fp8 v[8:11], a[98:99], a[42:43], v[8:11]// 00000000F2F4: D3F30008 1C225562
	v_mfma_f32_16x16x32_fp8_fp8 v[8:11], a[100:101], a[44:45], v[8:11]// 00000000F2FC: D3F30008 1C225964
	v_mfma_f32_16x16x32_fp8_fp8 v[8:11], a[102:103], a[46:47], v[8:11]// 00000000F304: D3F30008 1C225D66
	v_fma_f32 v84, v12, v4, v84                                // 00000000F30C: D1CB0054 0552090C
	v_fma_f32 v85, v13, v4, v85                                // 00000000F314: D1CB0055 0556090D
	v_fma_f32 v86, v14, v4, v86                                // 00000000F31C: D1CB0056 055A090E
	v_fma_f32 v87, v15, v4, v87                                // 00000000F324: D1CB0057 055E090F
	v_mfma_f32_16x16x32_fp8_fp8 v[12:15], a[104:105], a[40:41], 0// 00000000F32C: D3F3000C 1A025168
	buffer_load_dwordx4 a[156:159], v61, s[24:27], 0 offen offset:1024// 00000000F334: E05C1400 80869C3D
	v_mfma_f32_16x16x32_fp8_fp8 v[12:15], a[106:107], a[42:43], v[12:15]// 00000000F33C: D3F3000C 1C32556A
	v_mfma_f32_16x16x32_fp8_fp8 v[12:15], a[108:109], a[44:45], v[12:15]// 00000000F344: D3F3000C 1C32596C
	v_mfma_f32_16x16x32_fp8_fp8 v[12:15], a[110:111], a[46:47], v[12:15]// 00000000F34C: D3F3000C 1C325D6E
	v_fma_f32 v104, v8, v6, v104                               // 00000000F354: D1CB0068 05A20D08
	v_fma_f32 v105, v9, v6, v105                               // 00000000F35C: D1CB0069 05A60D09
	v_fma_f32 v106, v10, v6, v106                              // 00000000F364: D1CB006A 05AA0D0A
	v_fma_f32 v107, v11, v6, v107                              // 00000000F36C: D1CB006B 05AE0D0B
	v_mul_f32_dpp v4, v24, v36 row_newbcast:0 row_mask:0xf bank_mask:0xf// 00000000F374: 0A0848FA FF015018
	v_mfma_f32_16x16x32_fp8_fp8 v[8:11], a[80:81], a[48:49], 0 // 00000000F37C: D3F30008 1A026150
	buffer_load_dwordx4 a[160:163], v62, s[24:27], 0 offen     // 00000000F384: E05C1000 8086A03E
	v_mfma_f32_16x16x32_fp8_fp8 v[8:11], a[82:83], a[50:51], v[8:11]// 00000000F38C: D3F30008 1C226552
	v_mfma_f32_16x16x32_fp8_fp8 v[8:11], a[84:85], a[52:53], v[8:11]// 00000000F394: D3F30008 1C226954
	v_mfma_f32_16x16x32_fp8_fp8 v[8:11], a[86:87], a[54:55], v[8:11]// 00000000F39C: D3F30008 1C226D56
	v_fma_f32 v124, v12, v6, v124                              // 00000000F3A4: D1CB007C 05F20D0C
	v_fma_f32 v125, v13, v6, v125                              // 00000000F3AC: D1CB007D 05F60D0D
	v_fma_f32 v126, v14, v6, v126                              // 00000000F3B4: D1CB007E 05FA0D0E
	v_fma_f32 v127, v15, v6, v127                              // 00000000F3BC: D1CB007F 05FE0D0F
	v_mfma_f32_16x16x32_fp8_fp8 v[12:15], a[88:89], a[48:49], 0// 00000000F3C4: D3F3000C 1A026158
	buffer_load_dwordx4 a[164:167], v62, s[24:27], 0 offen offset:1024// 00000000F3CC: E05C1400 8086A43E
	v_mfma_f32_16x16x32_fp8_fp8 v[12:15], a[90:91], a[50:51], v[12:15]// 00000000F3D4: D3F3000C 1C32655A
	v_mfma_f32_16x16x32_fp8_fp8 v[12:15], a[92:93], a[52:53], v[12:15]// 00000000F3DC: D3F3000C 1C32695C
	v_mfma_f32_16x16x32_fp8_fp8 v[12:15], a[94:95], a[54:55], v[12:15]// 00000000F3E4: D3F3000C 1C326D5E
	v_fma_f32 v68, v8, v4, v68                                 // 00000000F3EC: D1CB0044 05120908
	v_fma_f32 v69, v9, v4, v69                                 // 00000000F3F4: D1CB0045 05160909
	v_fma_f32 v70, v10, v4, v70                                // 00000000F3FC: D1CB0046 051A090A
	v_fma_f32 v71, v11, v4, v71                                // 00000000F404: D1CB0047 051E090B
	v_mul_f32_dpp v6, v24, v36 row_newbcast:1 row_mask:0xf bank_mask:0xf// 00000000F40C: 0A0C48FA FF015118
	v_mfma_f32_16x16x32_fp8_fp8 v[8:11], a[96:97], a[48:49], 0 // 00000000F414: D3F30008 1A026160
	buffer_load_dwordx4 a[168:171], v63, s[24:27], 0 offen     // 00000000F41C: E05C1000 8086A83F
	v_mfma_f32_16x16x32_fp8_fp8 v[8:11], a[98:99], a[50:51], v[8:11]// 00000000F424: D3F30008 1C226562
	v_mfma_f32_16x16x32_fp8_fp8 v[8:11], a[100:101], a[52:53], v[8:11]// 00000000F42C: D3F30008 1C226964
	v_mfma_f32_16x16x32_fp8_fp8 v[8:11], a[102:103], a[54:55], v[8:11]// 00000000F434: D3F30008 1C226D66
	v_fma_f32 v88, v12, v4, v88                                // 00000000F43C: D1CB0058 0562090C
	v_fma_f32 v89, v13, v4, v89                                // 00000000F444: D1CB0059 0566090D
	v_fma_f32 v90, v14, v4, v90                                // 00000000F44C: D1CB005A 056A090E
	v_fma_f32 v91, v15, v4, v91                                // 00000000F454: D1CB005B 056E090F
	v_mfma_f32_16x16x32_fp8_fp8 v[12:15], a[104:105], a[48:49], 0// 00000000F45C: D3F3000C 1A026168
	buffer_load_dwordx4 a[172:175], v63, s[24:27], 0 offen offset:1024// 00000000F464: E05C1400 8086AC3F
	buffer_load_dword v50, s[20:23], 0 offen lds               // 00000000F46C: E0511000 80050032
	s_add_u32 m0, 0x100, s50                                   // 00000000F474: 807C32FF 00000100
	v_mfma_f32_16x16x32_fp8_fp8 v[12:15], a[106:107], a[50:51], v[12:15]// 00000000F47C: D3F3000C 1C32656A
	v_mfma_f32_16x16x32_fp8_fp8 v[12:15], a[108:109], a[52:53], v[12:15]// 00000000F484: D3F3000C 1C32696C
	buffer_load_dword v51, s[20:23], 0 offen lds               // 00000000F48C: E0511000 80050033
	s_add_u32 m0, 0x200, s50                                   // 00000000F494: 807C32FF 00000200
	v_mfma_f32_16x16x32_fp8_fp8 v[12:15], a[110:111], a[54:55], v[12:15]// 00000000F49C: D3F3000C 1C326D6E
	v_fma_f32 v108, v8, v6, v108                               // 00000000F4A4: D1CB006C 05B20D08
	v_fma_f32 v109, v9, v6, v109                               // 00000000F4AC: D1CB006D 05B60D09
	v_fma_f32 v110, v10, v6, v110                              // 00000000F4B4: D1CB006E 05BA0D0A
	v_fma_f32 v111, v11, v6, v111                              // 00000000F4BC: D1CB006F 05BE0D0B
	v_mul_f32_dpp v4, v24, v37 row_newbcast:0 row_mask:0xf bank_mask:0xf// 00000000F4C4: 0A084AFA FF015018
	v_mfma_f32_16x16x32_fp8_fp8 v[8:11], a[80:81], a[56:57], 0 // 00000000F4CC: D3F30008 1A027150
	buffer_load_dword v52, s[20:23], 0 offen lds               // 00000000F4D4: E0511000 80050034
	s_add_u32 m0, 0x300, s50                                   // 00000000F4DC: 807C32FF 00000300
	v_mfma_f32_16x16x32_fp8_fp8 v[8:11], a[82:83], a[58:59], v[8:11]// 00000000F4E4: D3F30008 1C227552
	v_mfma_f32_16x16x32_fp8_fp8 v[8:11], a[84:85], a[60:61], v[8:11]// 00000000F4EC: D3F30008 1C227954
	buffer_load_dword v53, s[20:23], 0 offen lds               // 00000000F4F4: E0511000 80050035
	s_add_u32 m0, 0x400, s50                                   // 00000000F4FC: 807C32FF 00000400
	v_mfma_f32_16x16x32_fp8_fp8 v[8:11], a[86:87], a[62:63], v[8:11]// 00000000F504: D3F30008 1C227D56
	v_fma_f32 v128, v12, v6, v128                              // 00000000F50C: D1CB0080 06020D0C
	v_fma_f32 v129, v13, v6, v129                              // 00000000F514: D1CB0081 06060D0D
	v_fma_f32 v130, v14, v6, v130                              // 00000000F51C: D1CB0082 060A0D0E
	v_fma_f32 v131, v15, v6, v131                              // 00000000F524: D1CB0083 060E0D0F
	v_mfma_f32_16x16x32_fp8_fp8 v[12:15], a[88:89], a[56:57], 0// 00000000F52C: D3F3000C 1A027158
	buffer_load_dword v54, s[20:23], 0 offen lds               // 00000000F534: E0511000 80050036
	s_add_u32 m0, 0x500, s50                                   // 00000000F53C: 807C32FF 00000500
	v_mfma_f32_16x16x32_fp8_fp8 v[12:15], a[90:91], a[58:59], v[12:15]// 00000000F544: D3F3000C 1C32755A
	v_mfma_f32_16x16x32_fp8_fp8 v[12:15], a[92:93], a[60:61], v[12:15]// 00000000F54C: D3F3000C 1C32795C
	buffer_load_dword v55, s[20:23], 0 offen lds               // 00000000F554: E0511000 80050037
	s_add_u32 m0, 0x600, s50                                   // 00000000F55C: 807C32FF 00000600
	v_mfma_f32_16x16x32_fp8_fp8 v[12:15], a[94:95], a[62:63], v[12:15]// 00000000F564: D3F3000C 1C327D5E
	v_fma_f32 v72, v8, v4, v72                                 // 00000000F56C: D1CB0048 05220908
	v_fma_f32 v73, v9, v4, v73                                 // 00000000F574: D1CB0049 05260909
	v_fma_f32 v74, v10, v4, v74                                // 00000000F57C: D1CB004A 052A090A
	v_fma_f32 v75, v11, v4, v75                                // 00000000F584: D1CB004B 052E090B
	v_mul_f32_dpp v6, v24, v37 row_newbcast:1 row_mask:0xf bank_mask:0xf// 00000000F58C: 0A0C4AFA FF015118
	v_mfma_f32_16x16x32_fp8_fp8 v[8:11], a[96:97], a[56:57], 0 // 00000000F594: D3F30008 1A027160
	buffer_load_dword v56, s[20:23], 0 offen lds               // 00000000F59C: E0511000 80050038
	s_add_u32 m0, 0x700, s50                                   // 00000000F5A4: 807C32FF 00000700
	v_mfma_f32_16x16x32_fp8_fp8 v[8:11], a[98:99], a[58:59], v[8:11]// 00000000F5AC: D3F30008 1C227562
	v_mfma_f32_16x16x32_fp8_fp8 v[8:11], a[100:101], a[60:61], v[8:11]// 00000000F5B4: D3F30008 1C227964
	buffer_load_dword v57, s[20:23], 0 offen lds               // 00000000F5BC: E0511000 80050039
	s_add_u32 m0, 0x800, s50                                   // 00000000F5C4: 807C32FF 00000800
	v_mfma_f32_16x16x32_fp8_fp8 v[8:11], a[102:103], a[62:63], v[8:11]// 00000000F5CC: D3F30008 1C227D66
	v_fma_f32 v92, v12, v4, v92                                // 00000000F5D4: D1CB005C 0572090C
	v_fma_f32 v93, v13, v4, v93                                // 00000000F5DC: D1CB005D 0576090D
	v_fma_f32 v94, v14, v4, v94                                // 00000000F5E4: D1CB005E 057A090E
	v_fma_f32 v95, v15, v4, v95                                // 00000000F5EC: D1CB005F 057E090F
	v_mfma_f32_16x16x32_fp8_fp8 v[12:15], a[104:105], a[56:57], 0// 00000000F5F4: D3F3000C 1A027168
	buffer_load_dword v58, s[20:23], 0 offen lds               // 00000000F5FC: E0511000 8005003A
	s_add_u32 m0, 0x900, s50                                   // 00000000F604: 807C32FF 00000900
	v_mfma_f32_16x16x32_fp8_fp8 v[12:15], a[106:107], a[58:59], v[12:15]// 00000000F60C: D3F3000C 1C32756A
	v_mfma_f32_16x16x32_fp8_fp8 v[12:15], a[108:109], a[60:61], v[12:15]// 00000000F614: D3F3000C 1C32796C
	buffer_load_dword v59, s[20:23], 0 offen lds               // 00000000F61C: E0511000 8005003B
	s_add_u32 m0, 0, s48                                       // 00000000F624: 807C3080
	v_mfma_f32_16x16x32_fp8_fp8 v[12:15], a[110:111], a[62:63], v[12:15]// 00000000F628: D3F3000C 1C327D6E
	v_fma_f32 v112, v8, v6, v112                               // 00000000F630: D1CB0070 05C20D08
	v_fma_f32 v113, v9, v6, v113                               // 00000000F638: D1CB0071 05C60D09
	v_fma_f32 v114, v10, v6, v114                              // 00000000F640: D1CB0072 05CA0D0A
	v_fma_f32 v115, v11, v6, v115                              // 00000000F648: D1CB0073 05CE0D0B
	v_mul_f32_dpp v4, v24, v38 row_newbcast:0 row_mask:0xf bank_mask:0xf// 00000000F650: 0A084CFA FF015018
	v_mfma_f32_16x16x32_fp8_fp8 v[8:11], a[80:81], a[64:65], 0 // 00000000F658: D3F30008 1A028150
	buffer_load_dword v45, v30, s[28:31], 0 offen              // 00000000F660: E0501000 80072D1E
	v_mfma_f32_16x16x32_fp8_fp8 v[8:11], a[82:83], a[66:67], v[8:11]// 00000000F668: D3F30008 1C228552
	v_mfma_f32_16x16x32_fp8_fp8 v[8:11], a[84:85], a[68:69], v[8:11]// 00000000F670: D3F30008 1C228954
	buffer_load_dword v46, v31, s[28:31], 0 offen              // 00000000F678: E0501000 80072E1F
	v_mfma_f32_16x16x32_fp8_fp8 v[8:11], a[86:87], a[70:71], v[8:11]// 00000000F680: D3F30008 1C228D56
	v_fma_f32 v132, v12, v6, v132                              // 00000000F688: D1CB0084 06120D0C
	v_fma_f32 v133, v13, v6, v133                              // 00000000F690: D1CB0085 06160D0D
	v_fma_f32 v134, v14, v6, v134                              // 00000000F698: D1CB0086 061A0D0E
	v_fma_f32 v135, v15, v6, v135                              // 00000000F6A0: D1CB0087 061E0D0F
	v_mfma_f32_16x16x32_fp8_fp8 v[12:15], a[88:89], a[64:65], 0// 00000000F6A8: D3F3000C 1A028158
	buffer_load_dword v47, v32, s[28:31], 0 offen              // 00000000F6B0: E0501000 80072F20
	v_mfma_f32_16x16x32_fp8_fp8 v[12:15], a[90:91], a[66:67], v[12:15]// 00000000F6B8: D3F3000C 1C32855A
	v_mfma_f32_16x16x32_fp8_fp8 v[12:15], a[92:93], a[68:69], v[12:15]// 00000000F6C0: D3F3000C 1C32895C
	buffer_load_dword v48, v33, s[28:31], 0 offen              // 00000000F6C8: E0501000 80073021
	v_mfma_f32_16x16x32_fp8_fp8 v[12:15], a[94:95], a[70:71], v[12:15]// 00000000F6D0: D3F3000C 1C328D5E
	v_fma_f32 v76, v8, v4, v76                                 // 00000000F6D8: D1CB004C 05320908
	v_fma_f32 v77, v9, v4, v77                                 // 00000000F6E0: D1CB004D 05360909
	v_fma_f32 v78, v10, v4, v78                                // 00000000F6E8: D1CB004E 053A090A
	v_fma_f32 v79, v11, v4, v79                                // 00000000F6F0: D1CB004F 053E090B
	v_mul_f32_dpp v6, v24, v38 row_newbcast:1 row_mask:0xf bank_mask:0xf// 00000000F6F8: 0A0C4CFA FF015118
	v_mfma_f32_16x16x32_fp8_fp8 v[8:11], a[96:97], a[64:65], 0 // 00000000F700: D3F30008 1A028160
	buffer_load_dword v49, v34, s[28:31], 0 offen              // 00000000F708: E0501000 80073122
	v_mfma_f32_16x16x32_fp8_fp8 v[8:11], a[98:99], a[66:67], v[8:11]// 00000000F710: D3F30008 1C228562
	v_mfma_f32_16x16x32_fp8_fp8 v[8:11], a[100:101], a[68:69], v[8:11]// 00000000F718: D3F30008 1C228964
	v_mfma_f32_16x16x32_fp8_fp8 v[8:11], a[102:103], a[70:71], v[8:11]// 00000000F720: D3F30008 1C228D66
	v_fma_f32 v96, v12, v4, v96                                // 00000000F728: D1CB0060 0582090C
	v_fma_f32 v97, v13, v4, v97                                // 00000000F730: D1CB0061 0586090D
	v_fma_f32 v98, v14, v4, v98                                // 00000000F738: D1CB0062 058A090E
	v_fma_f32 v99, v15, v4, v99                                // 00000000F740: D1CB0063 058E090F
	v_mfma_f32_16x16x32_fp8_fp8 v[12:15], a[104:105], a[64:65], 0// 00000000F748: D3F3000C 1A028168
	v_mfma_f32_16x16x32_fp8_fp8 v[12:15], a[106:107], a[66:67], v[12:15]// 00000000F750: D3F3000C 1C32856A
	v_mfma_f32_16x16x32_fp8_fp8 v[12:15], a[108:109], a[68:69], v[12:15]// 00000000F758: D3F3000C 1C32896C
	v_mfma_f32_16x16x32_fp8_fp8 v[12:15], a[110:111], a[70:71], v[12:15]// 00000000F760: D3F3000C 1C328D6E
	v_fma_f32 v116, v8, v6, v116                               // 00000000F768: D1CB0074 05D20D08
	v_fma_f32 v117, v9, v6, v117                               // 00000000F770: D1CB0075 05D60D09
	v_fma_f32 v118, v10, v6, v118                              // 00000000F778: D1CB0076 05DA0D0A
	v_fma_f32 v119, v11, v6, v119                              // 00000000F780: D1CB0077 05DE0D0B
	v_mul_f32_dpp v4, v24, v39 row_newbcast:0 row_mask:0xf bank_mask:0xf// 00000000F788: 0A084EFA FF015018
	v_mfma_f32_16x16x32_fp8_fp8 v[8:11], a[80:81], a[72:73], 0 // 00000000F790: D3F30008 1A029150
	v_mfma_f32_16x16x32_fp8_fp8 v[8:11], a[82:83], a[74:75], v[8:11]// 00000000F798: D3F30008 1C229552
	v_mfma_f32_16x16x32_fp8_fp8 v[8:11], a[84:85], a[76:77], v[8:11]// 00000000F7A0: D3F30008 1C229954
	v_mfma_f32_16x16x32_fp8_fp8 v[8:11], a[86:87], a[78:79], v[8:11]// 00000000F7A8: D3F30008 1C229D56
	v_fma_f32 v136, v12, v6, v136                              // 00000000F7B0: D1CB0088 06220D0C
	v_fma_f32 v137, v13, v6, v137                              // 00000000F7B8: D1CB0089 06260D0D
	v_fma_f32 v138, v14, v6, v138                              // 00000000F7C0: D1CB008A 062A0D0E
	v_fma_f32 v139, v15, v6, v139                              // 00000000F7C8: D1CB008B 062E0D0F
	v_mfma_f32_16x16x32_fp8_fp8 v[12:15], a[88:89], a[72:73], 0// 00000000F7D0: D3F3000C 1A029158
	v_mfma_f32_16x16x32_fp8_fp8 v[12:15], a[90:91], a[74:75], v[12:15]// 00000000F7D8: D3F3000C 1C32955A
	v_mfma_f32_16x16x32_fp8_fp8 v[12:15], a[92:93], a[76:77], v[12:15]// 00000000F7E0: D3F3000C 1C32995C
	v_mfma_f32_16x16x32_fp8_fp8 v[12:15], a[94:95], a[78:79], v[12:15]// 00000000F7E8: D3F3000C 1C329D5E
	v_fma_f32 v80, v8, v4, v80                                 // 00000000F7F0: D1CB0050 05420908
	v_fma_f32 v81, v9, v4, v81                                 // 00000000F7F8: D1CB0051 05460909
	v_fma_f32 v82, v10, v4, v82                                // 00000000F800: D1CB0052 054A090A
	v_fma_f32 v83, v11, v4, v83                                // 00000000F808: D1CB0053 054E090B
	v_mul_f32_dpp v6, v24, v39 row_newbcast:1 row_mask:0xf bank_mask:0xf// 00000000F810: 0A0C4EFA FF015118
	v_mfma_f32_16x16x32_fp8_fp8 v[8:11], a[96:97], a[72:73], 0 // 00000000F818: D3F30008 1A029160
	v_mfma_f32_16x16x32_fp8_fp8 v[8:11], a[98:99], a[74:75], v[8:11]// 00000000F820: D3F30008 1C229562
	v_mfma_f32_16x16x32_fp8_fp8 v[8:11], a[100:101], a[76:77], v[8:11]// 00000000F828: D3F30008 1C229964
	v_mfma_f32_16x16x32_fp8_fp8 v[8:11], a[102:103], a[78:79], v[8:11]// 00000000F830: D3F30008 1C229D66
	v_fma_f32 v100, v12, v4, v100                              // 00000000F838: D1CB0064 0592090C
	v_fma_f32 v101, v13, v4, v101                              // 00000000F840: D1CB0065 0596090D
	v_fma_f32 v102, v14, v4, v102                              // 00000000F848: D1CB0066 059A090E
	v_fma_f32 v103, v15, v4, v103                              // 00000000F850: D1CB0067 059E090F
	v_mfma_f32_16x16x32_fp8_fp8 v[12:15], a[104:105], a[72:73], 0// 00000000F858: D3F3000C 1A029168
	v_mfma_f32_16x16x32_fp8_fp8 v[12:15], a[106:107], a[74:75], v[12:15]// 00000000F860: D3F3000C 1C32956A
	v_mfma_f32_16x16x32_fp8_fp8 v[12:15], a[108:109], a[76:77], v[12:15]// 00000000F868: D3F3000C 1C32996C
	v_mfma_f32_16x16x32_fp8_fp8 v[12:15], a[110:111], a[78:79], v[12:15]// 00000000F870: D3F3000C 1C329D6E
	v_fma_f32 v120, v8, v6, v120                               // 00000000F878: D1CB0078 05E20D08
	v_fma_f32 v121, v9, v6, v121                               // 00000000F880: D1CB0079 05E60D09
	v_fma_f32 v122, v10, v6, v122                              // 00000000F888: D1CB007A 05EA0D0A
	v_fma_f32 v123, v11, v6, v123                              // 00000000F890: D1CB007B 05EE0D0B
	v_fma_f32 v140, v12, v6, v140                              // 00000000F898: D1CB008C 06320D0C
	v_fma_f32 v141, v13, v6, v141                              // 00000000F8A0: D1CB008D 06360D0D
	v_fma_f32 v142, v14, v6, v142                              // 00000000F8A8: D1CB008E 063A0D0E
	v_fma_f32 v143, v15, v6, v143                              // 00000000F8B0: D1CB008F 063E0D0F
	s_waitcnt vmcnt(24)                                        // 00000000F8B8: BF8C4F78
	s_barrier                                                  // 00000000F8BC: BF8A0000
	v_mul_f32_dpp v4, v27, v35 row_newbcast:0 row_mask:0xf bank_mask:0xf// 00000000F8C0: 0A0846FA FF01501B
	v_mfma_f32_16x16x32_fp8_fp8 v[8:11], a[112:113], a[40:41], 0// 00000000F8C8: D3F30008 1A025170
	buffer_load_dword v28, v23, s[32:35], 0 offen              // 00000000F8D0: E0501000 80081C17
	buffer_load_dwordx4 a[80:83], v60, s[84:87], 0 offen       // 00000000F8D8: E05C1000 8095503C
	v_mfma_f32_16x16x32_fp8_fp8 v[8:11], a[114:115], a[42:43], v[8:11]// 00000000F8E0: D3F30008 1C225572
	v_mfma_f32_16x16x32_fp8_fp8 v[8:11], a[116:117], a[44:45], v[8:11]// 00000000F8E8: D3F30008 1C225974
	ds_read_b128 a[0:3], v2 offset:10368                       // 00000000F8F0: DBFE2880 00000002
	ds_read_b128 a[4:7], v2 offset:10432                       // 00000000F8F8: DBFE28C0 04000002
	v_mfma_f32_16x16x32_fp8_fp8 v[8:11], a[118:119], a[46:47], v[8:11]// 00000000F900: D3F30008 1C225D76
	v_mfma_f32_16x16x32_fp8_fp8 v[12:15], a[120:121], a[40:41], 0// 00000000F908: D3F3000C 1A025178
	buffer_load_dwordx4 a[84:87], v60, s[84:87], 0 offen offset:1024// 00000000F910: E05C1400 8095543C
	v_mfma_f32_16x16x32_fp8_fp8 v[12:15], a[122:123], a[42:43], v[12:15]// 00000000F918: D3F3000C 1C32557A
	v_mfma_f32_16x16x32_fp8_fp8 v[12:15], a[124:125], a[44:45], v[12:15]// 00000000F920: D3F3000C 1C32597C
	ds_read_b128 a[8:11], v2 offset:10880                      // 00000000F928: DBFE2A80 08000002
	ds_read_b128 a[12:15], v2 offset:10944                     // 00000000F930: DBFE2AC0 0C000002
	v_mfma_f32_16x16x32_fp8_fp8 v[12:15], a[126:127], a[46:47], v[12:15]// 00000000F938: D3F3000C 1C325D7E
	v_fma_f32 v144, v8, v4, v144                               // 00000000F940: D1CB0090 06420908
	v_fma_f32 v145, v9, v4, v145                               // 00000000F948: D1CB0091 06460909
	v_fma_f32 v146, v10, v4, v146                              // 00000000F950: D1CB0092 064A090A
	v_fma_f32 v147, v11, v4, v147                              // 00000000F958: D1CB0093 064E090B
	v_mul_f32_dpp v6, v27, v35 row_newbcast:1 row_mask:0xf bank_mask:0xf// 00000000F960: 0A0C46FA FF01511B
	v_mfma_f32_16x16x32_fp8_fp8 v[8:11], a[128:129], a[40:41], 0// 00000000F968: D3F30008 1A025180
	buffer_load_dwordx4 a[88:91], v61, s[84:87], 0 offen       // 00000000F970: E05C1000 8095583D
	v_mfma_f32_16x16x32_fp8_fp8 v[8:11], a[130:131], a[42:43], v[8:11]// 00000000F978: D3F30008 1C225582
	v_mfma_f32_16x16x32_fp8_fp8 v[8:11], a[132:133], a[44:45], v[8:11]// 00000000F980: D3F30008 1C225984
	ds_read_b128 a[16:19], v2 offset:11392                     // 00000000F988: DBFE2C80 10000002
	ds_read_b128 a[20:23], v2 offset:11456                     // 00000000F990: DBFE2CC0 14000002
	v_mfma_f32_16x16x32_fp8_fp8 v[8:11], a[134:135], a[46:47], v[8:11]// 00000000F998: D3F30008 1C225D86
	v_fma_f32 v164, v12, v4, v164                              // 00000000F9A0: D1CB00A4 0692090C
	v_fma_f32 v165, v13, v4, v165                              // 00000000F9A8: D1CB00A5 0696090D
	v_fma_f32 v166, v14, v4, v166                              // 00000000F9B0: D1CB00A6 069A090E
	v_fma_f32 v167, v15, v4, v167                              // 00000000F9B8: D1CB00A7 069E090F
	v_mfma_f32_16x16x32_fp8_fp8 v[12:15], a[136:137], a[40:41], 0// 00000000F9C0: D3F3000C 1A025188
	buffer_load_dwordx4 a[92:95], v61, s[84:87], 0 offen offset:1024// 00000000F9C8: E05C1400 80955C3D
	v_mfma_f32_16x16x32_fp8_fp8 v[12:15], a[138:139], a[42:43], v[12:15]// 00000000F9D0: D3F3000C 1C32558A
	v_mfma_f32_16x16x32_fp8_fp8 v[12:15], a[140:141], a[44:45], v[12:15]// 00000000F9D8: D3F3000C 1C32598C
	ds_read_b128 a[24:27], v2 offset:11904                     // 00000000F9E0: DBFE2E80 18000002
	ds_read_b128 a[28:31], v2 offset:11968                     // 00000000F9E8: DBFE2EC0 1C000002
	v_mfma_f32_16x16x32_fp8_fp8 v[12:15], a[142:143], a[46:47], v[12:15]// 00000000F9F0: D3F3000C 1C325D8E
	v_fma_f32 v184, v8, v6, v184                               // 00000000F9F8: D1CB00B8 06E20D08
	v_fma_f32 v185, v9, v6, v185                               // 00000000FA00: D1CB00B9 06E60D09
	v_fma_f32 v186, v10, v6, v186                              // 00000000FA08: D1CB00BA 06EA0D0A
	v_fma_f32 v187, v11, v6, v187                              // 00000000FA10: D1CB00BB 06EE0D0B
	v_mul_f32_dpp v4, v27, v36 row_newbcast:0 row_mask:0xf bank_mask:0xf// 00000000FA18: 0A0848FA FF01501B
	v_mfma_f32_16x16x32_fp8_fp8 v[8:11], a[112:113], a[48:49], 0// 00000000FA20: D3F30008 1A026170
	buffer_load_dwordx4 a[96:99], v62, s[84:87], 0 offen       // 00000000FA28: E05C1000 8095603E
	v_mfma_f32_16x16x32_fp8_fp8 v[8:11], a[114:115], a[50:51], v[8:11]// 00000000FA30: D3F30008 1C226572
	v_mfma_f32_16x16x32_fp8_fp8 v[8:11], a[116:117], a[52:53], v[8:11]// 00000000FA38: D3F30008 1C226974
	ds_read_b128 a[32:35], v2 offset:12416                     // 00000000FA40: DBFE3080 20000002
	ds_read_b128 a[36:39], v2 offset:12480                     // 00000000FA48: DBFE30C0 24000002
	v_mfma_f32_16x16x32_fp8_fp8 v[8:11], a[118:119], a[54:55], v[8:11]// 00000000FA50: D3F30008 1C226D76
	v_fma_f32 v204, v12, v6, v204                              // 00000000FA58: D1CB00CC 07320D0C
	v_fma_f32 v205, v13, v6, v205                              // 00000000FA60: D1CB00CD 07360D0D
	v_fma_f32 v206, v14, v6, v206                              // 00000000FA68: D1CB00CE 073A0D0E
	v_fma_f32 v207, v15, v6, v207                              // 00000000FA70: D1CB00CF 073E0D0F
	v_mfma_f32_16x16x32_fp8_fp8 v[12:15], a[120:121], a[48:49], 0// 00000000FA78: D3F3000C 1A026178
	buffer_load_dwordx4 a[100:103], v62, s[84:87], 0 offen offset:1024// 00000000FA80: E05C1400 8095643E
	v_mfma_f32_16x16x32_fp8_fp8 v[12:15], a[122:123], a[50:51], v[12:15]// 00000000FA88: D3F3000C 1C32657A
	v_mfma_f32_16x16x32_fp8_fp8 v[12:15], a[124:125], a[52:53], v[12:15]// 00000000FA90: D3F3000C 1C32697C
	v_mfma_f32_16x16x32_fp8_fp8 v[12:15], a[126:127], a[54:55], v[12:15]// 00000000FA98: D3F3000C 1C326D7E
	v_fma_f32 v148, v8, v4, v148                               // 00000000FAA0: D1CB0094 06520908
	v_fma_f32 v149, v9, v4, v149                               // 00000000FAA8: D1CB0095 06560909
	v_fma_f32 v150, v10, v4, v150                              // 00000000FAB0: D1CB0096 065A090A
	v_fma_f32 v151, v11, v4, v151                              // 00000000FAB8: D1CB0097 065E090B
	v_mul_f32_dpp v6, v27, v36 row_newbcast:1 row_mask:0xf bank_mask:0xf// 00000000FAC0: 0A0C48FA FF01511B
	v_mfma_f32_16x16x32_fp8_fp8 v[8:11], a[128:129], a[48:49], 0// 00000000FAC8: D3F30008 1A026180
	buffer_load_dwordx4 a[104:107], v63, s[84:87], 0 offen     // 00000000FAD0: E05C1000 8095683F
	v_mfma_f32_16x16x32_fp8_fp8 v[8:11], a[130:131], a[50:51], v[8:11]// 00000000FAD8: D3F30008 1C226582
	v_mfma_f32_16x16x32_fp8_fp8 v[8:11], a[132:133], a[52:53], v[8:11]// 00000000FAE0: D3F30008 1C226984
	v_mfma_f32_16x16x32_fp8_fp8 v[8:11], a[134:135], a[54:55], v[8:11]// 00000000FAE8: D3F30008 1C226D86
	v_fma_f32 v168, v12, v4, v168                              // 00000000FAF0: D1CB00A8 06A2090C
	v_fma_f32 v169, v13, v4, v169                              // 00000000FAF8: D1CB00A9 06A6090D
	v_fma_f32 v170, v14, v4, v170                              // 00000000FB00: D1CB00AA 06AA090E
	v_fma_f32 v171, v15, v4, v171                              // 00000000FB08: D1CB00AB 06AE090F
	v_mfma_f32_16x16x32_fp8_fp8 v[12:15], a[136:137], a[48:49], 0// 00000000FB10: D3F3000C 1A026188
	buffer_load_dwordx4 a[108:111], v63, s[84:87], 0 offen offset:1024// 00000000FB18: E05C1400 80956C3F
	v_mfma_f32_16x16x32_fp8_fp8 v[12:15], a[138:139], a[50:51], v[12:15]// 00000000FB20: D3F3000C 1C32658A
	v_mfma_f32_16x16x32_fp8_fp8 v[12:15], a[140:141], a[52:53], v[12:15]// 00000000FB28: D3F3000C 1C32698C
	v_mfma_f32_16x16x32_fp8_fp8 v[12:15], a[142:143], a[54:55], v[12:15]// 00000000FB30: D3F3000C 1C326D8E
	v_fma_f32 v188, v8, v6, v188                               // 00000000FB38: D1CB00BC 06F20D08
	v_fma_f32 v189, v9, v6, v189                               // 00000000FB40: D1CB00BD 06F60D09
	v_fma_f32 v190, v10, v6, v190                              // 00000000FB48: D1CB00BE 06FA0D0A
	v_fma_f32 v191, v11, v6, v191                              // 00000000FB50: D1CB00BF 06FE0D0B
	v_mul_f32_dpp v4, v27, v37 row_newbcast:0 row_mask:0xf bank_mask:0xf// 00000000FB58: 0A084AFA FF01501B
	v_mfma_f32_16x16x32_fp8_fp8 v[8:11], a[112:113], a[56:57], 0// 00000000FB60: D3F30008 1A027170
	v_mfma_f32_16x16x32_fp8_fp8 v[8:11], a[114:115], a[58:59], v[8:11]// 00000000FB68: D3F30008 1C227572
	v_mfma_f32_16x16x32_fp8_fp8 v[8:11], a[116:117], a[60:61], v[8:11]// 00000000FB70: D3F30008 1C227974
	v_mfma_f32_16x16x32_fp8_fp8 v[8:11], a[118:119], a[62:63], v[8:11]// 00000000FB78: D3F30008 1C227D76
	v_fma_f32 v208, v12, v6, v208                              // 00000000FB80: D1CB00D0 07420D0C
	v_fma_f32 v209, v13, v6, v209                              // 00000000FB88: D1CB00D1 07460D0D
	v_fma_f32 v210, v14, v6, v210                              // 00000000FB90: D1CB00D2 074A0D0E
	v_fma_f32 v211, v15, v6, v211                              // 00000000FB98: D1CB00D3 074E0D0F
	v_mfma_f32_16x16x32_fp8_fp8 v[12:15], a[120:121], a[56:57], 0// 00000000FBA0: D3F3000C 1A027178
	v_mfma_f32_16x16x32_fp8_fp8 v[12:15], a[122:123], a[58:59], v[12:15]// 00000000FBA8: D3F3000C 1C32757A
	v_mfma_f32_16x16x32_fp8_fp8 v[12:15], a[124:125], a[60:61], v[12:15]// 00000000FBB0: D3F3000C 1C32797C
	v_mfma_f32_16x16x32_fp8_fp8 v[12:15], a[126:127], a[62:63], v[12:15]// 00000000FBB8: D3F3000C 1C327D7E
	v_fma_f32 v152, v8, v4, v152                               // 00000000FBC0: D1CB0098 06620908
	v_fma_f32 v153, v9, v4, v153                               // 00000000FBC8: D1CB0099 06660909
	v_fma_f32 v154, v10, v4, v154                              // 00000000FBD0: D1CB009A 066A090A
	v_fma_f32 v155, v11, v4, v155                              // 00000000FBD8: D1CB009B 066E090B
	v_mul_f32_dpp v6, v27, v37 row_newbcast:1 row_mask:0xf bank_mask:0xf// 00000000FBE0: 0A0C4AFA FF01511B
	v_mfma_f32_16x16x32_fp8_fp8 v[8:11], a[128:129], a[56:57], 0// 00000000FBE8: D3F30008 1A027180
	v_mfma_f32_16x16x32_fp8_fp8 v[8:11], a[130:131], a[58:59], v[8:11]// 00000000FBF0: D3F30008 1C227582
	v_mfma_f32_16x16x32_fp8_fp8 v[8:11], a[132:133], a[60:61], v[8:11]// 00000000FBF8: D3F30008 1C227984
	v_mfma_f32_16x16x32_fp8_fp8 v[8:11], a[134:135], a[62:63], v[8:11]// 00000000FC00: D3F30008 1C227D86
	v_fma_f32 v172, v12, v4, v172                              // 00000000FC08: D1CB00AC 06B2090C
	v_fma_f32 v173, v13, v4, v173                              // 00000000FC10: D1CB00AD 06B6090D
	v_fma_f32 v174, v14, v4, v174                              // 00000000FC18: D1CB00AE 06BA090E
	v_fma_f32 v175, v15, v4, v175                              // 00000000FC20: D1CB00AF 06BE090F
	v_mfma_f32_16x16x32_fp8_fp8 v[12:15], a[136:137], a[56:57], 0// 00000000FC28: D3F3000C 1A027188
	v_mfma_f32_16x16x32_fp8_fp8 v[12:15], a[138:139], a[58:59], v[12:15]// 00000000FC30: D3F3000C 1C32758A
	v_mfma_f32_16x16x32_fp8_fp8 v[12:15], a[140:141], a[60:61], v[12:15]// 00000000FC38: D3F3000C 1C32798C
	v_mfma_f32_16x16x32_fp8_fp8 v[12:15], a[142:143], a[62:63], v[12:15]// 00000000FC40: D3F3000C 1C327D8E
	v_fma_f32 v192, v8, v6, v192                               // 00000000FC48: D1CB00C0 07020D08
	v_fma_f32 v193, v9, v6, v193                               // 00000000FC50: D1CB00C1 07060D09
	v_fma_f32 v194, v10, v6, v194                              // 00000000FC58: D1CB00C2 070A0D0A
	v_fma_f32 v195, v11, v6, v195                              // 00000000FC60: D1CB00C3 070E0D0B
	v_mul_f32_dpp v4, v27, v38 row_newbcast:0 row_mask:0xf bank_mask:0xf// 00000000FC68: 0A084CFA FF01501B
	v_mfma_f32_16x16x32_fp8_fp8 v[8:11], a[112:113], a[64:65], 0// 00000000FC70: D3F30008 1A028170
	v_mfma_f32_16x16x32_fp8_fp8 v[8:11], a[114:115], a[66:67], v[8:11]// 00000000FC78: D3F30008 1C228572
	v_mfma_f32_16x16x32_fp8_fp8 v[8:11], a[116:117], a[68:69], v[8:11]// 00000000FC80: D3F30008 1C228974
	v_mfma_f32_16x16x32_fp8_fp8 v[8:11], a[118:119], a[70:71], v[8:11]// 00000000FC88: D3F30008 1C228D76
	v_fma_f32 v212, v12, v6, v212                              // 00000000FC90: D1CB00D4 07520D0C
	v_fma_f32 v213, v13, v6, v213                              // 00000000FC98: D1CB00D5 07560D0D
	v_fma_f32 v214, v14, v6, v214                              // 00000000FCA0: D1CB00D6 075A0D0E
	v_fma_f32 v215, v15, v6, v215                              // 00000000FCA8: D1CB00D7 075E0D0F
	v_mfma_f32_16x16x32_fp8_fp8 v[12:15], a[120:121], a[64:65], 0// 00000000FCB0: D3F3000C 1A028178
	v_mfma_f32_16x16x32_fp8_fp8 v[12:15], a[122:123], a[66:67], v[12:15]// 00000000FCB8: D3F3000C 1C32857A
	v_mfma_f32_16x16x32_fp8_fp8 v[12:15], a[124:125], a[68:69], v[12:15]// 00000000FCC0: D3F3000C 1C32897C
	v_mfma_f32_16x16x32_fp8_fp8 v[12:15], a[126:127], a[70:71], v[12:15]// 00000000FCC8: D3F3000C 1C328D7E
	v_fma_f32 v156, v8, v4, v156                               // 00000000FCD0: D1CB009C 06720908
	v_fma_f32 v157, v9, v4, v157                               // 00000000FCD8: D1CB009D 06760909
	v_fma_f32 v158, v10, v4, v158                              // 00000000FCE0: D1CB009E 067A090A
	v_fma_f32 v159, v11, v4, v159                              // 00000000FCE8: D1CB009F 067E090B
	v_mul_f32_dpp v6, v27, v38 row_newbcast:1 row_mask:0xf bank_mask:0xf// 00000000FCF0: 0A0C4CFA FF01511B
	v_mfma_f32_16x16x32_fp8_fp8 v[8:11], a[128:129], a[64:65], 0// 00000000FCF8: D3F30008 1A028180
	v_mfma_f32_16x16x32_fp8_fp8 v[8:11], a[130:131], a[66:67], v[8:11]// 00000000FD00: D3F30008 1C228582
	v_mfma_f32_16x16x32_fp8_fp8 v[8:11], a[132:133], a[68:69], v[8:11]// 00000000FD08: D3F30008 1C228984
	v_mfma_f32_16x16x32_fp8_fp8 v[8:11], a[134:135], a[70:71], v[8:11]// 00000000FD10: D3F30008 1C228D86
	v_fma_f32 v176, v12, v4, v176                              // 00000000FD18: D1CB00B0 06C2090C
	v_fma_f32 v177, v13, v4, v177                              // 00000000FD20: D1CB00B1 06C6090D
	v_fma_f32 v178, v14, v4, v178                              // 00000000FD28: D1CB00B2 06CA090E
	v_fma_f32 v179, v15, v4, v179                              // 00000000FD30: D1CB00B3 06CE090F
	v_mfma_f32_16x16x32_fp8_fp8 v[12:15], a[136:137], a[64:65], 0// 00000000FD38: D3F3000C 1A028188
	v_mfma_f32_16x16x32_fp8_fp8 v[12:15], a[138:139], a[66:67], v[12:15]// 00000000FD40: D3F3000C 1C32858A
	v_mfma_f32_16x16x32_fp8_fp8 v[12:15], a[140:141], a[68:69], v[12:15]// 00000000FD48: D3F3000C 1C32898C
	v_mfma_f32_16x16x32_fp8_fp8 v[12:15], a[142:143], a[70:71], v[12:15]// 00000000FD50: D3F3000C 1C328D8E
	v_fma_f32 v196, v8, v6, v196                               // 00000000FD58: D1CB00C4 07120D08
	v_fma_f32 v197, v9, v6, v197                               // 00000000FD60: D1CB00C5 07160D09
	v_fma_f32 v198, v10, v6, v198                              // 00000000FD68: D1CB00C6 071A0D0A
	v_fma_f32 v199, v11, v6, v199                              // 00000000FD70: D1CB00C7 071E0D0B
	v_mul_f32_dpp v4, v27, v39 row_newbcast:0 row_mask:0xf bank_mask:0xf// 00000000FD78: 0A084EFA FF01501B
	v_mfma_f32_16x16x32_fp8_fp8 v[8:11], a[112:113], a[72:73], 0// 00000000FD80: D3F30008 1A029170
	v_mfma_f32_16x16x32_fp8_fp8 v[8:11], a[114:115], a[74:75], v[8:11]// 00000000FD88: D3F30008 1C229572
	v_mfma_f32_16x16x32_fp8_fp8 v[8:11], a[116:117], a[76:77], v[8:11]// 00000000FD90: D3F30008 1C229974
	v_mfma_f32_16x16x32_fp8_fp8 v[8:11], a[118:119], a[78:79], v[8:11]// 00000000FD98: D3F30008 1C229D76
	v_fma_f32 v216, v12, v6, v216                              // 00000000FDA0: D1CB00D8 07620D0C
	v_fma_f32 v217, v13, v6, v217                              // 00000000FDA8: D1CB00D9 07660D0D
	v_fma_f32 v218, v14, v6, v218                              // 00000000FDB0: D1CB00DA 076A0D0E
	v_fma_f32 v219, v15, v6, v219                              // 00000000FDB8: D1CB00DB 076E0D0F
	v_mfma_f32_16x16x32_fp8_fp8 v[12:15], a[120:121], a[72:73], 0// 00000000FDC0: D3F3000C 1A029178
	v_mfma_f32_16x16x32_fp8_fp8 v[12:15], a[122:123], a[74:75], v[12:15]// 00000000FDC8: D3F3000C 1C32957A
	v_mfma_f32_16x16x32_fp8_fp8 v[12:15], a[124:125], a[76:77], v[12:15]// 00000000FDD0: D3F3000C 1C32997C
	v_mfma_f32_16x16x32_fp8_fp8 v[12:15], a[126:127], a[78:79], v[12:15]// 00000000FDD8: D3F3000C 1C329D7E
	v_fma_f32 v160, v8, v4, v160                               // 00000000FDE0: D1CB00A0 06820908
	v_fma_f32 v161, v9, v4, v161                               // 00000000FDE8: D1CB00A1 06860909
	v_fma_f32 v162, v10, v4, v162                              // 00000000FDF0: D1CB00A2 068A090A
	v_fma_f32 v163, v11, v4, v163                              // 00000000FDF8: D1CB00A3 068E090B
	v_mul_f32_dpp v6, v27, v39 row_newbcast:1 row_mask:0xf bank_mask:0xf// 00000000FE00: 0A0C4EFA FF01511B
	v_mfma_f32_16x16x32_fp8_fp8 v[8:11], a[128:129], a[72:73], 0// 00000000FE08: D3F30008 1A029180
	s_add_u32 s60, 0x180, s80                                  // 00000000FE10: 803C50FF 00000180
	s_cmp_lt_u32 s60, s81                                      // 00000000FE18: BF0A513C
	s_cselect_b32 s57, s57, 0                                  // 00000000FE1C: 85398039
	s_cselect_b32 s3, s3, 0                                    // 00000000FE20: 85038003
	v_mfma_f32_16x16x32_fp8_fp8 v[8:11], a[130:131], a[74:75], v[8:11]// 00000000FE24: D3F30008 1C229582
	s_add_u32 s60, 0x100, s80                                  // 00000000FE2C: 803C50FF 00000100
	s_cmp_lt_u32 s60, s81                                      // 00000000FE34: BF0A513C
	s_cselect_b32 s58, s58, 0                                  // 00000000FE38: 853A803A
	v_mfma_f32_16x16x32_fp8_fp8 v[8:11], a[132:133], a[76:77], v[8:11]// 00000000FE3C: D3F30008 1C229984
	s_add_u32 s60, 0x100, s80                                  // 00000000FE44: 803C50FF 00000100
	s_cmp_lt_u32 s60, s81                                      // 00000000FE4C: BF0A513C
	s_cselect_b32 s83, s83, 0                                  // 00000000FE50: 85538053
	s_cselect_b32 s4, s4, 0                                    // 00000000FE54: 85048004
	v_mfma_f32_16x16x32_fp8_fp8 v[8:11], a[134:135], a[78:79], v[8:11]// 00000000FE58: D3F30008 1C229D86
	s_add_u32 s24, s58, s24                                    // 00000000FE60: 8018183A
	s_addc_u32 s25, 0, s25                                     // 00000000FE64: 82191980
	v_fma_f32 v180, v12, v4, v180                              // 00000000FE68: D1CB00B4 06D2090C
	v_fma_f32 v181, v13, v4, v181                              // 00000000FE70: D1CB00B5 06D6090D
	v_fma_f32 v182, v14, v4, v182                              // 00000000FE78: D1CB00B6 06DA090E
	v_fma_f32 v183, v15, v4, v183                              // 00000000FE80: D1CB00B7 06DE090F
	v_mfma_f32_16x16x32_fp8_fp8 v[12:15], a[136:137], a[72:73], 0// 00000000FE88: D3F3000C 1A029188
	s_add_u32 s20, s57, s20                                    // 00000000FE90: 80141439
	s_addc_u32 s21, 0, s21                                     // 00000000FE94: 82151580
	s_add_u32 s28, s3, s28                                     // 00000000FE98: 801C1C03
	s_addc_u32 s29, 0, s29                                     // 00000000FE9C: 821D1D80
	v_mfma_f32_16x16x32_fp8_fp8 v[12:15], a[138:139], a[74:75], v[12:15]// 00000000FEA0: D3F3000C 1C32958A
	s_add_u32 s84, s83, s84                                    // 00000000FEA8: 80545453
	s_addc_u32 s85, 0, s85                                     // 00000000FEAC: 82555580
	v_mfma_f32_16x16x32_fp8_fp8 v[12:15], a[140:141], a[76:77], v[12:15]// 00000000FEB0: D3F3000C 1C32998C
	s_add_u32 s32, s4, s32                                     // 00000000FEB8: 80202004
	s_addc_u32 s33, 0, s33                                     // 00000000FEBC: 82212180
	v_mfma_f32_16x16x32_fp8_fp8 v[12:15], a[142:143], a[78:79], v[12:15]// 00000000FEC0: D3F3000C 1C329D8E
	v_fma_f32 v200, v8, v6, v200                               // 00000000FEC8: D1CB00C8 07220D08
	v_fma_f32 v201, v9, v6, v201                               // 00000000FED0: D1CB00C9 07260D09
	v_fma_f32 v202, v10, v6, v202                              // 00000000FED8: D1CB00CA 072A0D0A
	v_fma_f32 v203, v11, v6, v203                              // 00000000FEE0: D1CB00CB 072E0D0B
	v_fma_f32 v220, v12, v6, v220                              // 00000000FEE8: D1CB00DC 07720D0C
	v_fma_f32 v221, v13, v6, v221                              // 00000000FEF0: D1CB00DD 07760D0D
	v_fma_f32 v222, v14, v6, v222                              // 00000000FEF8: D1CB00DE 077A0D0E
	v_fma_f32 v223, v15, v6, v223                              // 00000000FF00: D1CB00DF 077E0D0F
	s_addk_i32 s80, 0x80                                       // 00000000FF08: B7500080
	s_cmp_lt_i32 s80, s81                                      // 00000000FF0C: BF045150
	s_cbranch_scc0 label_3BA7                                  // 00000000FF10: BF84065F
	s_waitcnt vmcnt(24) lgkmcnt(0)                             // 00000000FF14: BF8C4078
	v_mul_f32_dpp v4, v25, v40 row_newbcast:0 row_mask:0xf bank_mask:0xf// 00000000FF18: 0A0850FA FF015019
	v_mfma_f32_16x16x32_fp8_fp8 v[8:11], a[144:145], a[0:1], 0 // 00000000FF20: D3F30008 1A020190
	buffer_load_dword v26, v22, s[32:35], 0 offen              // 00000000FF28: E0501000 80081A16
	buffer_load_dwordx4 a[112:115], v60, s[24:27], 0 offen     // 00000000FF30: E05C1000 8086703C
	v_mfma_f32_16x16x32_fp8_fp8 v[8:11], a[146:147], a[2:3], v[8:11]// 00000000FF38: D3F30008 1C220592
	v_mfma_f32_16x16x32_fp8_fp8 v[8:11], a[148:149], a[4:5], v[8:11]// 00000000FF40: D3F30008 1C220994
	v_mfma_f32_16x16x32_fp8_fp8 v[8:11], a[150:151], a[6:7], v[8:11]// 00000000FF48: D3F30008 1C220D96
	v_mfma_f32_16x16x32_fp8_fp8 v[12:15], a[152:153], a[0:1], 0// 00000000FF50: D3F3000C 1A020198
	buffer_load_dwordx4 a[116:119], v60, s[24:27], 0 offen offset:1024// 00000000FF58: E05C1400 8086743C
	v_mfma_f32_16x16x32_fp8_fp8 v[12:15], a[154:155], a[2:3], v[12:15]// 00000000FF60: D3F3000C 1C32059A
	v_mfma_f32_16x16x32_fp8_fp8 v[12:15], a[156:157], a[4:5], v[12:15]// 00000000FF68: D3F3000C 1C32099C
	v_mfma_f32_16x16x32_fp8_fp8 v[12:15], a[158:159], a[6:7], v[12:15]// 00000000FF70: D3F3000C 1C320D9E
	v_fma_f32 v64, v8, v4, v64                                 // 00000000FF78: D1CB0040 05020908
	v_fma_f32 v65, v9, v4, v65                                 // 00000000FF80: D1CB0041 05060909
	v_fma_f32 v66, v10, v4, v66                                // 00000000FF88: D1CB0042 050A090A
	v_fma_f32 v67, v11, v4, v67                                // 00000000FF90: D1CB0043 050E090B
	v_mul_f32_dpp v6, v25, v40 row_newbcast:1 row_mask:0xf bank_mask:0xf// 00000000FF98: 0A0C50FA FF015119
	v_mfma_f32_16x16x32_fp8_fp8 v[8:11], a[160:161], a[0:1], 0 // 00000000FFA0: D3F30008 1A0201A0
	buffer_load_dwordx4 a[120:123], v61, s[24:27], 0 offen     // 00000000FFA8: E05C1000 8086783D
	v_mfma_f32_16x16x32_fp8_fp8 v[8:11], a[162:163], a[2:3], v[8:11]// 00000000FFB0: D3F30008 1C2205A2
	v_mfma_f32_16x16x32_fp8_fp8 v[8:11], a[164:165], a[4:5], v[8:11]// 00000000FFB8: D3F30008 1C2209A4
	v_mfma_f32_16x16x32_fp8_fp8 v[8:11], a[166:167], a[6:7], v[8:11]// 00000000FFC0: D3F30008 1C220DA6
	v_fma_f32 v84, v12, v4, v84                                // 00000000FFC8: D1CB0054 0552090C
	v_fma_f32 v85, v13, v4, v85                                // 00000000FFD0: D1CB0055 0556090D
	v_fma_f32 v86, v14, v4, v86                                // 00000000FFD8: D1CB0056 055A090E
	v_fma_f32 v87, v15, v4, v87                                // 00000000FFE0: D1CB0057 055E090F
	v_mfma_f32_16x16x32_fp8_fp8 v[12:15], a[168:169], a[0:1], 0// 00000000FFE8: D3F3000C 1A0201A8
	buffer_load_dwordx4 a[124:127], v61, s[24:27], 0 offen offset:1024// 00000000FFF0: E05C1400 80867C3D
	v_mfma_f32_16x16x32_fp8_fp8 v[12:15], a[170:171], a[2:3], v[12:15]// 00000000FFF8: D3F3000C 1C3205AA
	v_mfma_f32_16x16x32_fp8_fp8 v[12:15], a[172:173], a[4:5], v[12:15]// 000000010000: D3F3000C 1C3209AC
	v_mfma_f32_16x16x32_fp8_fp8 v[12:15], a[174:175], a[6:7], v[12:15]// 000000010008: D3F3000C 1C320DAE
	v_fma_f32 v104, v8, v6, v104                               // 000000010010: D1CB0068 05A20D08
	v_fma_f32 v105, v9, v6, v105                               // 000000010018: D1CB0069 05A60D09
	v_fma_f32 v106, v10, v6, v106                              // 000000010020: D1CB006A 05AA0D0A
	v_fma_f32 v107, v11, v6, v107                              // 000000010028: D1CB006B 05AE0D0B
	v_mul_f32_dpp v4, v25, v41 row_newbcast:0 row_mask:0xf bank_mask:0xf// 000000010030: 0A0852FA FF015019
	v_mfma_f32_16x16x32_fp8_fp8 v[8:11], a[144:145], a[8:9], 0 // 000000010038: D3F30008 1A021190
	buffer_load_dwordx4 a[128:131], v62, s[24:27], 0 offen     // 000000010040: E05C1000 8086803E
	v_mfma_f32_16x16x32_fp8_fp8 v[8:11], a[146:147], a[10:11], v[8:11]// 000000010048: D3F30008 1C221592
	v_mfma_f32_16x16x32_fp8_fp8 v[8:11], a[148:149], a[12:13], v[8:11]// 000000010050: D3F30008 1C221994
	v_mfma_f32_16x16x32_fp8_fp8 v[8:11], a[150:151], a[14:15], v[8:11]// 000000010058: D3F30008 1C221D96
	v_fma_f32 v124, v12, v6, v124                              // 000000010060: D1CB007C 05F20D0C
	v_fma_f32 v125, v13, v6, v125                              // 000000010068: D1CB007D 05F60D0D
	v_fma_f32 v126, v14, v6, v126                              // 000000010070: D1CB007E 05FA0D0E
	v_fma_f32 v127, v15, v6, v127                              // 000000010078: D1CB007F 05FE0D0F
	v_mfma_f32_16x16x32_fp8_fp8 v[12:15], a[152:153], a[8:9], 0// 000000010080: D3F3000C 1A021198
	buffer_load_dwordx4 a[132:135], v62, s[24:27], 0 offen offset:1024// 000000010088: E05C1400 8086843E
	v_mfma_f32_16x16x32_fp8_fp8 v[12:15], a[154:155], a[10:11], v[12:15]// 000000010090: D3F3000C 1C32159A
	v_mfma_f32_16x16x32_fp8_fp8 v[12:15], a[156:157], a[12:13], v[12:15]// 000000010098: D3F3000C 1C32199C
	v_mfma_f32_16x16x32_fp8_fp8 v[12:15], a[158:159], a[14:15], v[12:15]// 0000000100A0: D3F3000C 1C321D9E
	v_fma_f32 v68, v8, v4, v68                                 // 0000000100A8: D1CB0044 05120908
	v_fma_f32 v69, v9, v4, v69                                 // 0000000100B0: D1CB0045 05160909
	v_fma_f32 v70, v10, v4, v70                                // 0000000100B8: D1CB0046 051A090A
	v_fma_f32 v71, v11, v4, v71                                // 0000000100C0: D1CB0047 051E090B
	v_mul_f32_dpp v6, v25, v41 row_newbcast:1 row_mask:0xf bank_mask:0xf// 0000000100C8: 0A0C52FA FF015119
	v_mfma_f32_16x16x32_fp8_fp8 v[8:11], a[160:161], a[8:9], 0 // 0000000100D0: D3F30008 1A0211A0
	buffer_load_dwordx4 a[136:139], v63, s[24:27], 0 offen     // 0000000100D8: E05C1000 8086883F
	v_mfma_f32_16x16x32_fp8_fp8 v[8:11], a[162:163], a[10:11], v[8:11]// 0000000100E0: D3F30008 1C2215A2
	v_mfma_f32_16x16x32_fp8_fp8 v[8:11], a[164:165], a[12:13], v[8:11]// 0000000100E8: D3F30008 1C2219A4
	v_mfma_f32_16x16x32_fp8_fp8 v[8:11], a[166:167], a[14:15], v[8:11]// 0000000100F0: D3F30008 1C221DA6
	v_fma_f32 v88, v12, v4, v88                                // 0000000100F8: D1CB0058 0562090C
	v_fma_f32 v89, v13, v4, v89                                // 000000010100: D1CB0059 0566090D
	v_fma_f32 v90, v14, v4, v90                                // 000000010108: D1CB005A 056A090E
	v_fma_f32 v91, v15, v4, v91                                // 000000010110: D1CB005B 056E090F
	v_mfma_f32_16x16x32_fp8_fp8 v[12:15], a[168:169], a[8:9], 0// 000000010118: D3F3000C 1A0211A8
	buffer_load_dwordx4 a[140:143], v63, s[24:27], 0 offen offset:1024// 000000010120: E05C1400 80868C3F
	buffer_load_dword v50, s[20:23], 0 offen lds               // 000000010128: E0511000 80050032
	s_add_u32 m0, 0x100, s48                                   // 000000010130: 807C30FF 00000100
	v_mfma_f32_16x16x32_fp8_fp8 v[12:15], a[170:171], a[10:11], v[12:15]// 000000010138: D3F3000C 1C3215AA
	v_mfma_f32_16x16x32_fp8_fp8 v[12:15], a[172:173], a[12:13], v[12:15]// 000000010140: D3F3000C 1C3219AC
	buffer_load_dword v51, s[20:23], 0 offen lds               // 000000010148: E0511000 80050033
	s_add_u32 m0, 0x200, s48                                   // 000000010150: 807C30FF 00000200
	v_mfma_f32_16x16x32_fp8_fp8 v[12:15], a[174:175], a[14:15], v[12:15]// 000000010158: D3F3000C 1C321DAE
	v_fma_f32 v108, v8, v6, v108                               // 000000010160: D1CB006C 05B20D08
	v_fma_f32 v109, v9, v6, v109                               // 000000010168: D1CB006D 05B60D09
	v_fma_f32 v110, v10, v6, v110                              // 000000010170: D1CB006E 05BA0D0A
	v_fma_f32 v111, v11, v6, v111                              // 000000010178: D1CB006F 05BE0D0B
	v_mul_f32_dpp v4, v25, v42 row_newbcast:0 row_mask:0xf bank_mask:0xf// 000000010180: 0A0854FA FF015019
	v_mfma_f32_16x16x32_fp8_fp8 v[8:11], a[144:145], a[16:17], 0// 000000010188: D3F30008 1A022190
	buffer_load_dword v52, s[20:23], 0 offen lds               // 000000010190: E0511000 80050034
	s_add_u32 m0, 0x300, s48                                   // 000000010198: 807C30FF 00000300
	v_mfma_f32_16x16x32_fp8_fp8 v[8:11], a[146:147], a[18:19], v[8:11]// 0000000101A0: D3F30008 1C222592
	v_mfma_f32_16x16x32_fp8_fp8 v[8:11], a[148:149], a[20:21], v[8:11]// 0000000101A8: D3F30008 1C222994
	buffer_load_dword v53, s[20:23], 0 offen lds               // 0000000101B0: E0511000 80050035
	s_add_u32 m0, 0x400, s48                                   // 0000000101B8: 807C30FF 00000400
	v_mfma_f32_16x16x32_fp8_fp8 v[8:11], a[150:151], a[22:23], v[8:11]// 0000000101C0: D3F30008 1C222D96
	v_fma_f32 v128, v12, v6, v128                              // 0000000101C8: D1CB0080 06020D0C
	v_fma_f32 v129, v13, v6, v129                              // 0000000101D0: D1CB0081 06060D0D
	v_fma_f32 v130, v14, v6, v130                              // 0000000101D8: D1CB0082 060A0D0E
	v_fma_f32 v131, v15, v6, v131                              // 0000000101E0: D1CB0083 060E0D0F
	v_mfma_f32_16x16x32_fp8_fp8 v[12:15], a[152:153], a[16:17], 0// 0000000101E8: D3F3000C 1A022198
	buffer_load_dword v54, s[20:23], 0 offen lds               // 0000000101F0: E0511000 80050036
	s_add_u32 m0, 0x500, s48                                   // 0000000101F8: 807C30FF 00000500
	v_mfma_f32_16x16x32_fp8_fp8 v[12:15], a[154:155], a[18:19], v[12:15]// 000000010200: D3F3000C 1C32259A
	v_mfma_f32_16x16x32_fp8_fp8 v[12:15], a[156:157], a[20:21], v[12:15]// 000000010208: D3F3000C 1C32299C
	buffer_load_dword v55, s[20:23], 0 offen lds               // 000000010210: E0511000 80050037
	s_add_u32 m0, 0x600, s48                                   // 000000010218: 807C30FF 00000600
	v_mfma_f32_16x16x32_fp8_fp8 v[12:15], a[158:159], a[22:23], v[12:15]// 000000010220: D3F3000C 1C322D9E
	v_fma_f32 v72, v8, v4, v72                                 // 000000010228: D1CB0048 05220908
	v_fma_f32 v73, v9, v4, v73                                 // 000000010230: D1CB0049 05260909
	v_fma_f32 v74, v10, v4, v74                                // 000000010238: D1CB004A 052A090A
	v_fma_f32 v75, v11, v4, v75                                // 000000010240: D1CB004B 052E090B
	v_mul_f32_dpp v6, v25, v42 row_newbcast:1 row_mask:0xf bank_mask:0xf// 000000010248: 0A0C54FA FF015119
	v_mfma_f32_16x16x32_fp8_fp8 v[8:11], a[160:161], a[16:17], 0// 000000010250: D3F30008 1A0221A0
	buffer_load_dword v56, s[20:23], 0 offen lds               // 000000010258: E0511000 80050038
	s_add_u32 m0, 0x700, s48                                   // 000000010260: 807C30FF 00000700
	v_mfma_f32_16x16x32_fp8_fp8 v[8:11], a[162:163], a[18:19], v[8:11]// 000000010268: D3F30008 1C2225A2
	v_mfma_f32_16x16x32_fp8_fp8 v[8:11], a[164:165], a[20:21], v[8:11]// 000000010270: D3F30008 1C2229A4
	buffer_load_dword v57, s[20:23], 0 offen lds               // 000000010278: E0511000 80050039
	s_add_u32 m0, 0x800, s48                                   // 000000010280: 807C30FF 00000800
	v_mfma_f32_16x16x32_fp8_fp8 v[8:11], a[166:167], a[22:23], v[8:11]// 000000010288: D3F30008 1C222DA6
	v_fma_f32 v92, v12, v4, v92                                // 000000010290: D1CB005C 0572090C
	v_fma_f32 v93, v13, v4, v93                                // 000000010298: D1CB005D 0576090D
	v_fma_f32 v94, v14, v4, v94                                // 0000000102A0: D1CB005E 057A090E
	v_fma_f32 v95, v15, v4, v95                                // 0000000102A8: D1CB005F 057E090F
	v_mfma_f32_16x16x32_fp8_fp8 v[12:15], a[168:169], a[16:17], 0// 0000000102B0: D3F3000C 1A0221A8
	buffer_load_dword v58, s[20:23], 0 offen lds               // 0000000102B8: E0511000 8005003A
	s_add_u32 m0, 0x900, s48                                   // 0000000102C0: 807C30FF 00000900
	v_mfma_f32_16x16x32_fp8_fp8 v[12:15], a[170:171], a[18:19], v[12:15]// 0000000102C8: D3F3000C 1C3225AA
	v_mfma_f32_16x16x32_fp8_fp8 v[12:15], a[172:173], a[20:21], v[12:15]// 0000000102D0: D3F3000C 1C3229AC
	buffer_load_dword v59, s[20:23], 0 offen lds               // 0000000102D8: E0511000 8005003B
	s_add_u32 m0, 0, s49                                       // 0000000102E0: 807C3180
	v_mfma_f32_16x16x32_fp8_fp8 v[12:15], a[174:175], a[22:23], v[12:15]// 0000000102E4: D3F3000C 1C322DAE
	v_fma_f32 v112, v8, v6, v112                               // 0000000102EC: D1CB0070 05C20D08
	v_fma_f32 v113, v9, v6, v113                               // 0000000102F4: D1CB0071 05C60D09
	v_fma_f32 v114, v10, v6, v114                              // 0000000102FC: D1CB0072 05CA0D0A
	v_fma_f32 v115, v11, v6, v115                              // 000000010304: D1CB0073 05CE0D0B
	v_mul_f32_dpp v4, v25, v43 row_newbcast:0 row_mask:0xf bank_mask:0xf// 00000001030C: 0A0856FA FF015019
	v_mfma_f32_16x16x32_fp8_fp8 v[8:11], a[144:145], a[24:25], 0// 000000010314: D3F30008 1A023190
	buffer_load_dword v35, v30, s[28:31], 0 offen              // 00000001031C: E0501000 8007231E
	v_mfma_f32_16x16x32_fp8_fp8 v[8:11], a[146:147], a[26:27], v[8:11]// 000000010324: D3F30008 1C223592
	v_mfma_f32_16x16x32_fp8_fp8 v[8:11], a[148:149], a[28:29], v[8:11]// 00000001032C: D3F30008 1C223994
	buffer_load_dword v36, v31, s[28:31], 0 offen              // 000000010334: E0501000 8007241F
	v_mfma_f32_16x16x32_fp8_fp8 v[8:11], a[150:151], a[30:31], v[8:11]// 00000001033C: D3F30008 1C223D96
	v_fma_f32 v132, v12, v6, v132                              // 000000010344: D1CB0084 06120D0C
	v_fma_f32 v133, v13, v6, v133                              // 00000001034C: D1CB0085 06160D0D
	v_fma_f32 v134, v14, v6, v134                              // 000000010354: D1CB0086 061A0D0E
	v_fma_f32 v135, v15, v6, v135                              // 00000001035C: D1CB0087 061E0D0F
	v_mfma_f32_16x16x32_fp8_fp8 v[12:15], a[152:153], a[24:25], 0// 000000010364: D3F3000C 1A023198
	buffer_load_dword v37, v32, s[28:31], 0 offen              // 00000001036C: E0501000 80072520
	v_mfma_f32_16x16x32_fp8_fp8 v[12:15], a[154:155], a[26:27], v[12:15]// 000000010374: D3F3000C 1C32359A
	v_mfma_f32_16x16x32_fp8_fp8 v[12:15], a[156:157], a[28:29], v[12:15]// 00000001037C: D3F3000C 1C32399C
	buffer_load_dword v38, v33, s[28:31], 0 offen              // 000000010384: E0501000 80072621
	v_mfma_f32_16x16x32_fp8_fp8 v[12:15], a[158:159], a[30:31], v[12:15]// 00000001038C: D3F3000C 1C323D9E
	v_fma_f32 v76, v8, v4, v76                                 // 000000010394: D1CB004C 05320908
	v_fma_f32 v77, v9, v4, v77                                 // 00000001039C: D1CB004D 05360909
	v_fma_f32 v78, v10, v4, v78                                // 0000000103A4: D1CB004E 053A090A
	v_fma_f32 v79, v11, v4, v79                                // 0000000103AC: D1CB004F 053E090B
	v_mul_f32_dpp v6, v25, v43 row_newbcast:1 row_mask:0xf bank_mask:0xf// 0000000103B4: 0A0C56FA FF015119
	v_mfma_f32_16x16x32_fp8_fp8 v[8:11], a[160:161], a[24:25], 0// 0000000103BC: D3F30008 1A0231A0
	buffer_load_dword v39, v34, s[28:31], 0 offen              // 0000000103C4: E0501000 80072722
	v_mfma_f32_16x16x32_fp8_fp8 v[8:11], a[162:163], a[26:27], v[8:11]// 0000000103CC: D3F30008 1C2235A2
	v_mfma_f32_16x16x32_fp8_fp8 v[8:11], a[164:165], a[28:29], v[8:11]// 0000000103D4: D3F30008 1C2239A4
	v_mfma_f32_16x16x32_fp8_fp8 v[8:11], a[166:167], a[30:31], v[8:11]// 0000000103DC: D3F30008 1C223DA6
	v_fma_f32 v96, v12, v4, v96                                // 0000000103E4: D1CB0060 0582090C
	v_fma_f32 v97, v13, v4, v97                                // 0000000103EC: D1CB0061 0586090D
	v_fma_f32 v98, v14, v4, v98                                // 0000000103F4: D1CB0062 058A090E
	v_fma_f32 v99, v15, v4, v99                                // 0000000103FC: D1CB0063 058E090F
	v_mfma_f32_16x16x32_fp8_fp8 v[12:15], a[168:169], a[24:25], 0// 000000010404: D3F3000C 1A0231A8
	v_mfma_f32_16x16x32_fp8_fp8 v[12:15], a[170:171], a[26:27], v[12:15]// 00000001040C: D3F3000C 1C3235AA
	v_mfma_f32_16x16x32_fp8_fp8 v[12:15], a[172:173], a[28:29], v[12:15]// 000000010414: D3F3000C 1C3239AC
	v_mfma_f32_16x16x32_fp8_fp8 v[12:15], a[174:175], a[30:31], v[12:15]// 00000001041C: D3F3000C 1C323DAE
	v_fma_f32 v116, v8, v6, v116                               // 000000010424: D1CB0074 05D20D08
	v_fma_f32 v117, v9, v6, v117                               // 00000001042C: D1CB0075 05D60D09
	v_fma_f32 v118, v10, v6, v118                              // 000000010434: D1CB0076 05DA0D0A
	v_fma_f32 v119, v11, v6, v119                              // 00000001043C: D1CB0077 05DE0D0B
	v_mul_f32_dpp v4, v25, v44 row_newbcast:0 row_mask:0xf bank_mask:0xf// 000000010444: 0A0858FA FF015019
	v_mfma_f32_16x16x32_fp8_fp8 v[8:11], a[144:145], a[32:33], 0// 00000001044C: D3F30008 1A024190
	v_mfma_f32_16x16x32_fp8_fp8 v[8:11], a[146:147], a[34:35], v[8:11]// 000000010454: D3F30008 1C224592
	v_mfma_f32_16x16x32_fp8_fp8 v[8:11], a[148:149], a[36:37], v[8:11]// 00000001045C: D3F30008 1C224994
	v_mfma_f32_16x16x32_fp8_fp8 v[8:11], a[150:151], a[38:39], v[8:11]// 000000010464: D3F30008 1C224D96
	v_fma_f32 v136, v12, v6, v136                              // 00000001046C: D1CB0088 06220D0C
	v_fma_f32 v137, v13, v6, v137                              // 000000010474: D1CB0089 06260D0D
	v_fma_f32 v138, v14, v6, v138                              // 00000001047C: D1CB008A 062A0D0E
	v_fma_f32 v139, v15, v6, v139                              // 000000010484: D1CB008B 062E0D0F
	v_mfma_f32_16x16x32_fp8_fp8 v[12:15], a[152:153], a[32:33], 0// 00000001048C: D3F3000C 1A024198
	v_mfma_f32_16x16x32_fp8_fp8 v[12:15], a[154:155], a[34:35], v[12:15]// 000000010494: D3F3000C 1C32459A
	v_mfma_f32_16x16x32_fp8_fp8 v[12:15], a[156:157], a[36:37], v[12:15]// 00000001049C: D3F3000C 1C32499C
	v_mfma_f32_16x16x32_fp8_fp8 v[12:15], a[158:159], a[38:39], v[12:15]// 0000000104A4: D3F3000C 1C324D9E
	v_fma_f32 v80, v8, v4, v80                                 // 0000000104AC: D1CB0050 05420908
	v_fma_f32 v81, v9, v4, v81                                 // 0000000104B4: D1CB0051 05460909
	v_fma_f32 v82, v10, v4, v82                                // 0000000104BC: D1CB0052 054A090A
	v_fma_f32 v83, v11, v4, v83                                // 0000000104C4: D1CB0053 054E090B
	v_mul_f32_dpp v6, v25, v44 row_newbcast:1 row_mask:0xf bank_mask:0xf// 0000000104CC: 0A0C58FA FF015119
	v_mfma_f32_16x16x32_fp8_fp8 v[8:11], a[160:161], a[32:33], 0// 0000000104D4: D3F30008 1A0241A0
	v_mfma_f32_16x16x32_fp8_fp8 v[8:11], a[162:163], a[34:35], v[8:11]// 0000000104DC: D3F30008 1C2245A2
	v_mfma_f32_16x16x32_fp8_fp8 v[8:11], a[164:165], a[36:37], v[8:11]// 0000000104E4: D3F30008 1C2249A4
	v_mfma_f32_16x16x32_fp8_fp8 v[8:11], a[166:167], a[38:39], v[8:11]// 0000000104EC: D3F30008 1C224DA6
	v_fma_f32 v100, v12, v4, v100                              // 0000000104F4: D1CB0064 0592090C
	v_fma_f32 v101, v13, v4, v101                              // 0000000104FC: D1CB0065 0596090D
	v_fma_f32 v102, v14, v4, v102                              // 000000010504: D1CB0066 059A090E
	v_fma_f32 v103, v15, v4, v103                              // 00000001050C: D1CB0067 059E090F
	v_mfma_f32_16x16x32_fp8_fp8 v[12:15], a[168:169], a[32:33], 0// 000000010514: D3F3000C 1A0241A8
	v_mfma_f32_16x16x32_fp8_fp8 v[12:15], a[170:171], a[34:35], v[12:15]// 00000001051C: D3F3000C 1C3245AA
	v_mfma_f32_16x16x32_fp8_fp8 v[12:15], a[172:173], a[36:37], v[12:15]// 000000010524: D3F3000C 1C3249AC
	v_mfma_f32_16x16x32_fp8_fp8 v[12:15], a[174:175], a[38:39], v[12:15]// 00000001052C: D3F3000C 1C324DAE
	v_fma_f32 v120, v8, v6, v120                               // 000000010534: D1CB0078 05E20D08
	v_fma_f32 v121, v9, v6, v121                               // 00000001053C: D1CB0079 05E60D09
	v_fma_f32 v122, v10, v6, v122                              // 000000010544: D1CB007A 05EA0D0A
	v_fma_f32 v123, v11, v6, v123                              // 00000001054C: D1CB007B 05EE0D0B
	v_fma_f32 v140, v12, v6, v140                              // 000000010554: D1CB008C 06320D0C
	v_fma_f32 v141, v13, v6, v141                              // 00000001055C: D1CB008D 06360D0D
	v_fma_f32 v142, v14, v6, v142                              // 000000010564: D1CB008E 063A0D0E
	v_fma_f32 v143, v15, v6, v143                              // 00000001056C: D1CB008F 063E0D0F
	s_waitcnt vmcnt(24)                                        // 000000010574: BF8C4F78
	s_barrier                                                  // 000000010578: BF8A0000
	v_mul_f32_dpp v4, v28, v40 row_newbcast:0 row_mask:0xf bank_mask:0xf// 00000001057C: 0A0850FA FF01501C
	v_mfma_f32_16x16x32_fp8_fp8 v[8:11], a[80:81], a[0:1], 0   // 000000010584: D3F30008 1A020150
	buffer_load_dword v29, v23, s[32:35], 0 offen              // 00000001058C: E0501000 80081D17
	buffer_load_dwordx4 a[144:147], v60, s[84:87], 0 offen     // 000000010594: E05C1000 8095903C
	v_mfma_f32_16x16x32_fp8_fp8 v[8:11], a[82:83], a[2:3], v[8:11]// 00000001059C: D3F30008 1C220552
	v_mfma_f32_16x16x32_fp8_fp8 v[8:11], a[84:85], a[4:5], v[8:11]// 0000000105A4: D3F30008 1C220954
	ds_read_b128 a[40:43], v2 offset:20736                     // 0000000105AC: DBFE5100 28000002
	ds_read_b128 a[44:47], v2 offset:20800                     // 0000000105B4: DBFE5140 2C000002
	v_mfma_f32_16x16x32_fp8_fp8 v[8:11], a[86:87], a[6:7], v[8:11]// 0000000105BC: D3F30008 1C220D56
	v_mfma_f32_16x16x32_fp8_fp8 v[12:15], a[88:89], a[0:1], 0  // 0000000105C4: D3F3000C 1A020158
	buffer_load_dwordx4 a[148:151], v60, s[84:87], 0 offen offset:1024// 0000000105CC: E05C1400 8095943C
	v_mfma_f32_16x16x32_fp8_fp8 v[12:15], a[90:91], a[2:3], v[12:15]// 0000000105D4: D3F3000C 1C32055A
	v_mfma_f32_16x16x32_fp8_fp8 v[12:15], a[92:93], a[4:5], v[12:15]// 0000000105DC: D3F3000C 1C32095C
	ds_read_b128 a[48:51], v2 offset:21248                     // 0000000105E4: DBFE5300 30000002
	ds_read_b128 a[52:55], v2 offset:21312                     // 0000000105EC: DBFE5340 34000002
	v_mfma_f32_16x16x32_fp8_fp8 v[12:15], a[94:95], a[6:7], v[12:15]// 0000000105F4: D3F3000C 1C320D5E
	v_fma_f32 v144, v8, v4, v144                               // 0000000105FC: D1CB0090 06420908
	v_fma_f32 v145, v9, v4, v145                               // 000000010604: D1CB0091 06460909
	v_fma_f32 v146, v10, v4, v146                              // 00000001060C: D1CB0092 064A090A
	v_fma_f32 v147, v11, v4, v147                              // 000000010614: D1CB0093 064E090B
	v_mul_f32_dpp v6, v28, v40 row_newbcast:1 row_mask:0xf bank_mask:0xf// 00000001061C: 0A0C50FA FF01511C
	v_mfma_f32_16x16x32_fp8_fp8 v[8:11], a[96:97], a[0:1], 0   // 000000010624: D3F30008 1A020160
	buffer_load_dwordx4 a[152:155], v61, s[84:87], 0 offen     // 00000001062C: E05C1000 8095983D
	v_mfma_f32_16x16x32_fp8_fp8 v[8:11], a[98:99], a[2:3], v[8:11]// 000000010634: D3F30008 1C220562
	v_mfma_f32_16x16x32_fp8_fp8 v[8:11], a[100:101], a[4:5], v[8:11]// 00000001063C: D3F30008 1C220964
	ds_read_b128 a[56:59], v2 offset:21760                     // 000000010644: DBFE5500 38000002
	ds_read_b128 a[60:63], v2 offset:21824                     // 00000001064C: DBFE5540 3C000002
	v_mfma_f32_16x16x32_fp8_fp8 v[8:11], a[102:103], a[6:7], v[8:11]// 000000010654: D3F30008 1C220D66
	v_fma_f32 v164, v12, v4, v164                              // 00000001065C: D1CB00A4 0692090C
	v_fma_f32 v165, v13, v4, v165                              // 000000010664: D1CB00A5 0696090D
	v_fma_f32 v166, v14, v4, v166                              // 00000001066C: D1CB00A6 069A090E
	v_fma_f32 v167, v15, v4, v167                              // 000000010674: D1CB00A7 069E090F
	v_mfma_f32_16x16x32_fp8_fp8 v[12:15], a[104:105], a[0:1], 0// 00000001067C: D3F3000C 1A020168
	buffer_load_dwordx4 a[156:159], v61, s[84:87], 0 offen offset:1024// 000000010684: E05C1400 80959C3D
	v_mfma_f32_16x16x32_fp8_fp8 v[12:15], a[106:107], a[2:3], v[12:15]// 00000001068C: D3F3000C 1C32056A
	v_mfma_f32_16x16x32_fp8_fp8 v[12:15], a[108:109], a[4:5], v[12:15]// 000000010694: D3F3000C 1C32096C
	ds_read_b128 a[64:67], v2 offset:22272                     // 00000001069C: DBFE5700 40000002
	ds_read_b128 a[68:71], v2 offset:22336                     // 0000000106A4: DBFE5740 44000002
	v_mfma_f32_16x16x32_fp8_fp8 v[12:15], a[110:111], a[6:7], v[12:15]// 0000000106AC: D3F3000C 1C320D6E
	v_fma_f32 v184, v8, v6, v184                               // 0000000106B4: D1CB00B8 06E20D08
	v_fma_f32 v185, v9, v6, v185                               // 0000000106BC: D1CB00B9 06E60D09
	v_fma_f32 v186, v10, v6, v186                              // 0000000106C4: D1CB00BA 06EA0D0A
	v_fma_f32 v187, v11, v6, v187                              // 0000000106CC: D1CB00BB 06EE0D0B
	v_mul_f32_dpp v4, v28, v41 row_newbcast:0 row_mask:0xf bank_mask:0xf// 0000000106D4: 0A0852FA FF01501C
	v_mfma_f32_16x16x32_fp8_fp8 v[8:11], a[80:81], a[8:9], 0   // 0000000106DC: D3F30008 1A021150
	buffer_load_dwordx4 a[160:163], v62, s[84:87], 0 offen     // 0000000106E4: E05C1000 8095A03E
	v_mfma_f32_16x16x32_fp8_fp8 v[8:11], a[82:83], a[10:11], v[8:11]// 0000000106EC: D3F30008 1C221552
	v_mfma_f32_16x16x32_fp8_fp8 v[8:11], a[84:85], a[12:13], v[8:11]// 0000000106F4: D3F30008 1C221954
	ds_read_b128 a[72:75], v2 offset:22784                     // 0000000106FC: DBFE5900 48000002
	ds_read_b128 a[76:79], v2 offset:22848                     // 000000010704: DBFE5940 4C000002
	v_mfma_f32_16x16x32_fp8_fp8 v[8:11], a[86:87], a[14:15], v[8:11]// 00000001070C: D3F30008 1C221D56
	v_fma_f32 v204, v12, v6, v204                              // 000000010714: D1CB00CC 07320D0C
	v_fma_f32 v205, v13, v6, v205                              // 00000001071C: D1CB00CD 07360D0D
	v_fma_f32 v206, v14, v6, v206                              // 000000010724: D1CB00CE 073A0D0E
	v_fma_f32 v207, v15, v6, v207                              // 00000001072C: D1CB00CF 073E0D0F
	v_mfma_f32_16x16x32_fp8_fp8 v[12:15], a[88:89], a[8:9], 0  // 000000010734: D3F3000C 1A021158
	buffer_load_dwordx4 a[164:167], v62, s[84:87], 0 offen offset:1024// 00000001073C: E05C1400 8095A43E
	v_mfma_f32_16x16x32_fp8_fp8 v[12:15], a[90:91], a[10:11], v[12:15]// 000000010744: D3F3000C 1C32155A
	v_mfma_f32_16x16x32_fp8_fp8 v[12:15], a[92:93], a[12:13], v[12:15]// 00000001074C: D3F3000C 1C32195C
	v_mfma_f32_16x16x32_fp8_fp8 v[12:15], a[94:95], a[14:15], v[12:15]// 000000010754: D3F3000C 1C321D5E
	v_fma_f32 v148, v8, v4, v148                               // 00000001075C: D1CB0094 06520908
	v_fma_f32 v149, v9, v4, v149                               // 000000010764: D1CB0095 06560909
	v_fma_f32 v150, v10, v4, v150                              // 00000001076C: D1CB0096 065A090A
	v_fma_f32 v151, v11, v4, v151                              // 000000010774: D1CB0097 065E090B
	v_mul_f32_dpp v6, v28, v41 row_newbcast:1 row_mask:0xf bank_mask:0xf// 00000001077C: 0A0C52FA FF01511C
	v_mfma_f32_16x16x32_fp8_fp8 v[8:11], a[96:97], a[8:9], 0   // 000000010784: D3F30008 1A021160
	buffer_load_dwordx4 a[168:171], v63, s[84:87], 0 offen     // 00000001078C: E05C1000 8095A83F
	v_mfma_f32_16x16x32_fp8_fp8 v[8:11], a[98:99], a[10:11], v[8:11]// 000000010794: D3F30008 1C221562
	v_mfma_f32_16x16x32_fp8_fp8 v[8:11], a[100:101], a[12:13], v[8:11]// 00000001079C: D3F30008 1C221964
	v_mfma_f32_16x16x32_fp8_fp8 v[8:11], a[102:103], a[14:15], v[8:11]// 0000000107A4: D3F30008 1C221D66
	v_fma_f32 v168, v12, v4, v168                              // 0000000107AC: D1CB00A8 06A2090C
	v_fma_f32 v169, v13, v4, v169                              // 0000000107B4: D1CB00A9 06A6090D
	v_fma_f32 v170, v14, v4, v170                              // 0000000107BC: D1CB00AA 06AA090E
	v_fma_f32 v171, v15, v4, v171                              // 0000000107C4: D1CB00AB 06AE090F
	v_mfma_f32_16x16x32_fp8_fp8 v[12:15], a[104:105], a[8:9], 0// 0000000107CC: D3F3000C 1A021168
	buffer_load_dwordx4 a[172:175], v63, s[84:87], 0 offen offset:1024// 0000000107D4: E05C1400 8095AC3F
	v_mfma_f32_16x16x32_fp8_fp8 v[12:15], a[106:107], a[10:11], v[12:15]// 0000000107DC: D3F3000C 1C32156A
	v_mfma_f32_16x16x32_fp8_fp8 v[12:15], a[108:109], a[12:13], v[12:15]// 0000000107E4: D3F3000C 1C32196C
	v_mfma_f32_16x16x32_fp8_fp8 v[12:15], a[110:111], a[14:15], v[12:15]// 0000000107EC: D3F3000C 1C321D6E
	v_fma_f32 v188, v8, v6, v188                               // 0000000107F4: D1CB00BC 06F20D08
	v_fma_f32 v189, v9, v6, v189                               // 0000000107FC: D1CB00BD 06F60D09
	v_fma_f32 v190, v10, v6, v190                              // 000000010804: D1CB00BE 06FA0D0A
	v_fma_f32 v191, v11, v6, v191                              // 00000001080C: D1CB00BF 06FE0D0B
	v_mul_f32_dpp v4, v28, v42 row_newbcast:0 row_mask:0xf bank_mask:0xf// 000000010814: 0A0854FA FF01501C
	v_mfma_f32_16x16x32_fp8_fp8 v[8:11], a[80:81], a[16:17], 0 // 00000001081C: D3F30008 1A022150
	v_mfma_f32_16x16x32_fp8_fp8 v[8:11], a[82:83], a[18:19], v[8:11]// 000000010824: D3F30008 1C222552
	v_mfma_f32_16x16x32_fp8_fp8 v[8:11], a[84:85], a[20:21], v[8:11]// 00000001082C: D3F30008 1C222954
	v_mfma_f32_16x16x32_fp8_fp8 v[8:11], a[86:87], a[22:23], v[8:11]// 000000010834: D3F30008 1C222D56
	v_fma_f32 v208, v12, v6, v208                              // 00000001083C: D1CB00D0 07420D0C
	v_fma_f32 v209, v13, v6, v209                              // 000000010844: D1CB00D1 07460D0D
	v_fma_f32 v210, v14, v6, v210                              // 00000001084C: D1CB00D2 074A0D0E
	v_fma_f32 v211, v15, v6, v211                              // 000000010854: D1CB00D3 074E0D0F
	v_mfma_f32_16x16x32_fp8_fp8 v[12:15], a[88:89], a[16:17], 0// 00000001085C: D3F3000C 1A022158
	v_mfma_f32_16x16x32_fp8_fp8 v[12:15], a[90:91], a[18:19], v[12:15]// 000000010864: D3F3000C 1C32255A
	v_mfma_f32_16x16x32_fp8_fp8 v[12:15], a[92:93], a[20:21], v[12:15]// 00000001086C: D3F3000C 1C32295C
	v_mfma_f32_16x16x32_fp8_fp8 v[12:15], a[94:95], a[22:23], v[12:15]// 000000010874: D3F3000C 1C322D5E
	v_fma_f32 v152, v8, v4, v152                               // 00000001087C: D1CB0098 06620908
	v_fma_f32 v153, v9, v4, v153                               // 000000010884: D1CB0099 06660909
	v_fma_f32 v154, v10, v4, v154                              // 00000001088C: D1CB009A 066A090A
	v_fma_f32 v155, v11, v4, v155                              // 000000010894: D1CB009B 066E090B
	v_mul_f32_dpp v6, v28, v42 row_newbcast:1 row_mask:0xf bank_mask:0xf// 00000001089C: 0A0C54FA FF01511C
	v_mfma_f32_16x16x32_fp8_fp8 v[8:11], a[96:97], a[16:17], 0 // 0000000108A4: D3F30008 1A022160
	v_mfma_f32_16x16x32_fp8_fp8 v[8:11], a[98:99], a[18:19], v[8:11]// 0000000108AC: D3F30008 1C222562
	v_mfma_f32_16x16x32_fp8_fp8 v[8:11], a[100:101], a[20:21], v[8:11]// 0000000108B4: D3F30008 1C222964
	v_mfma_f32_16x16x32_fp8_fp8 v[8:11], a[102:103], a[22:23], v[8:11]// 0000000108BC: D3F30008 1C222D66
	v_fma_f32 v172, v12, v4, v172                              // 0000000108C4: D1CB00AC 06B2090C
	v_fma_f32 v173, v13, v4, v173                              // 0000000108CC: D1CB00AD 06B6090D
	v_fma_f32 v174, v14, v4, v174                              // 0000000108D4: D1CB00AE 06BA090E
	v_fma_f32 v175, v15, v4, v175                              // 0000000108DC: D1CB00AF 06BE090F
	v_mfma_f32_16x16x32_fp8_fp8 v[12:15], a[104:105], a[16:17], 0// 0000000108E4: D3F3000C 1A022168
	v_mfma_f32_16x16x32_fp8_fp8 v[12:15], a[106:107], a[18:19], v[12:15]// 0000000108EC: D3F3000C 1C32256A
	v_mfma_f32_16x16x32_fp8_fp8 v[12:15], a[108:109], a[20:21], v[12:15]// 0000000108F4: D3F3000C 1C32296C
	v_mfma_f32_16x16x32_fp8_fp8 v[12:15], a[110:111], a[22:23], v[12:15]// 0000000108FC: D3F3000C 1C322D6E
	v_fma_f32 v192, v8, v6, v192                               // 000000010904: D1CB00C0 07020D08
	v_fma_f32 v193, v9, v6, v193                               // 00000001090C: D1CB00C1 07060D09
	v_fma_f32 v194, v10, v6, v194                              // 000000010914: D1CB00C2 070A0D0A
	v_fma_f32 v195, v11, v6, v195                              // 00000001091C: D1CB00C3 070E0D0B
	v_mul_f32_dpp v4, v28, v43 row_newbcast:0 row_mask:0xf bank_mask:0xf// 000000010924: 0A0856FA FF01501C
	v_mfma_f32_16x16x32_fp8_fp8 v[8:11], a[80:81], a[24:25], 0 // 00000001092C: D3F30008 1A023150
	v_mfma_f32_16x16x32_fp8_fp8 v[8:11], a[82:83], a[26:27], v[8:11]// 000000010934: D3F30008 1C223552
	v_mfma_f32_16x16x32_fp8_fp8 v[8:11], a[84:85], a[28:29], v[8:11]// 00000001093C: D3F30008 1C223954
	v_mfma_f32_16x16x32_fp8_fp8 v[8:11], a[86:87], a[30:31], v[8:11]// 000000010944: D3F30008 1C223D56
	v_fma_f32 v212, v12, v6, v212                              // 00000001094C: D1CB00D4 07520D0C
	v_fma_f32 v213, v13, v6, v213                              // 000000010954: D1CB00D5 07560D0D
	v_fma_f32 v214, v14, v6, v214                              // 00000001095C: D1CB00D6 075A0D0E
	v_fma_f32 v215, v15, v6, v215                              // 000000010964: D1CB00D7 075E0D0F
	v_mfma_f32_16x16x32_fp8_fp8 v[12:15], a[88:89], a[24:25], 0// 00000001096C: D3F3000C 1A023158
	v_mfma_f32_16x16x32_fp8_fp8 v[12:15], a[90:91], a[26:27], v[12:15]// 000000010974: D3F3000C 1C32355A
	v_mfma_f32_16x16x32_fp8_fp8 v[12:15], a[92:93], a[28:29], v[12:15]// 00000001097C: D3F3000C 1C32395C
	v_mfma_f32_16x16x32_fp8_fp8 v[12:15], a[94:95], a[30:31], v[12:15]// 000000010984: D3F3000C 1C323D5E
	v_fma_f32 v156, v8, v4, v156                               // 00000001098C: D1CB009C 06720908
	v_fma_f32 v157, v9, v4, v157                               // 000000010994: D1CB009D 06760909
	v_fma_f32 v158, v10, v4, v158                              // 00000001099C: D1CB009E 067A090A
	v_fma_f32 v159, v11, v4, v159                              // 0000000109A4: D1CB009F 067E090B
	v_mul_f32_dpp v6, v28, v43 row_newbcast:1 row_mask:0xf bank_mask:0xf// 0000000109AC: 0A0C56FA FF01511C
	v_mfma_f32_16x16x32_fp8_fp8 v[8:11], a[96:97], a[24:25], 0 // 0000000109B4: D3F30008 1A023160
	v_mfma_f32_16x16x32_fp8_fp8 v[8:11], a[98:99], a[26:27], v[8:11]// 0000000109BC: D3F30008 1C223562
	v_mfma_f32_16x16x32_fp8_fp8 v[8:11], a[100:101], a[28:29], v[8:11]// 0000000109C4: D3F30008 1C223964
	v_mfma_f32_16x16x32_fp8_fp8 v[8:11], a[102:103], a[30:31], v[8:11]// 0000000109CC: D3F30008 1C223D66
	v_fma_f32 v176, v12, v4, v176                              // 0000000109D4: D1CB00B0 06C2090C
	v_fma_f32 v177, v13, v4, v177                              // 0000000109DC: D1CB00B1 06C6090D
	v_fma_f32 v178, v14, v4, v178                              // 0000000109E4: D1CB00B2 06CA090E
	v_fma_f32 v179, v15, v4, v179                              // 0000000109EC: D1CB00B3 06CE090F
	v_mfma_f32_16x16x32_fp8_fp8 v[12:15], a[104:105], a[24:25], 0// 0000000109F4: D3F3000C 1A023168
	v_mfma_f32_16x16x32_fp8_fp8 v[12:15], a[106:107], a[26:27], v[12:15]// 0000000109FC: D3F3000C 1C32356A
	v_mfma_f32_16x16x32_fp8_fp8 v[12:15], a[108:109], a[28:29], v[12:15]// 000000010A04: D3F3000C 1C32396C
	v_mfma_f32_16x16x32_fp8_fp8 v[12:15], a[110:111], a[30:31], v[12:15]// 000000010A0C: D3F3000C 1C323D6E
	v_fma_f32 v196, v8, v6, v196                               // 000000010A14: D1CB00C4 07120D08
	v_fma_f32 v197, v9, v6, v197                               // 000000010A1C: D1CB00C5 07160D09
	v_fma_f32 v198, v10, v6, v198                              // 000000010A24: D1CB00C6 071A0D0A
	v_fma_f32 v199, v11, v6, v199                              // 000000010A2C: D1CB00C7 071E0D0B
	v_mul_f32_dpp v4, v28, v44 row_newbcast:0 row_mask:0xf bank_mask:0xf// 000000010A34: 0A0858FA FF01501C
	v_mfma_f32_16x16x32_fp8_fp8 v[8:11], a[80:81], a[32:33], 0 // 000000010A3C: D3F30008 1A024150
	v_mfma_f32_16x16x32_fp8_fp8 v[8:11], a[82:83], a[34:35], v[8:11]// 000000010A44: D3F30008 1C224552
	v_mfma_f32_16x16x32_fp8_fp8 v[8:11], a[84:85], a[36:37], v[8:11]// 000000010A4C: D3F30008 1C224954
	v_mfma_f32_16x16x32_fp8_fp8 v[8:11], a[86:87], a[38:39], v[8:11]// 000000010A54: D3F30008 1C224D56
	v_fma_f32 v216, v12, v6, v216                              // 000000010A5C: D1CB00D8 07620D0C
	v_fma_f32 v217, v13, v6, v217                              // 000000010A64: D1CB00D9 07660D0D
	v_fma_f32 v218, v14, v6, v218                              // 000000010A6C: D1CB00DA 076A0D0E
	v_fma_f32 v219, v15, v6, v219                              // 000000010A74: D1CB00DB 076E0D0F
	v_mfma_f32_16x16x32_fp8_fp8 v[12:15], a[88:89], a[32:33], 0// 000000010A7C: D3F3000C 1A024158
	v_mfma_f32_16x16x32_fp8_fp8 v[12:15], a[90:91], a[34:35], v[12:15]// 000000010A84: D3F3000C 1C32455A
	v_mfma_f32_16x16x32_fp8_fp8 v[12:15], a[92:93], a[36:37], v[12:15]// 000000010A8C: D3F3000C 1C32495C
	v_mfma_f32_16x16x32_fp8_fp8 v[12:15], a[94:95], a[38:39], v[12:15]// 000000010A94: D3F3000C 1C324D5E
	v_fma_f32 v160, v8, v4, v160                               // 000000010A9C: D1CB00A0 06820908
	v_fma_f32 v161, v9, v4, v161                               // 000000010AA4: D1CB00A1 06860909
	v_fma_f32 v162, v10, v4, v162                              // 000000010AAC: D1CB00A2 068A090A
	v_fma_f32 v163, v11, v4, v163                              // 000000010AB4: D1CB00A3 068E090B
	v_mul_f32_dpp v6, v28, v44 row_newbcast:1 row_mask:0xf bank_mask:0xf// 000000010ABC: 0A0C58FA FF01511C
	v_mfma_f32_16x16x32_fp8_fp8 v[8:11], a[96:97], a[32:33], 0 // 000000010AC4: D3F30008 1A024160
	s_add_u32 s60, 0x180, s80                                  // 000000010ACC: 803C50FF 00000180
	s_cmp_lt_u32 s60, s81                                      // 000000010AD4: BF0A513C
	s_cselect_b32 s57, s57, 0                                  // 000000010AD8: 85398039
	s_cselect_b32 s3, s3, 0                                    // 000000010ADC: 85038003
	v_mfma_f32_16x16x32_fp8_fp8 v[8:11], a[98:99], a[34:35], v[8:11]// 000000010AE0: D3F30008 1C224562
	s_add_u32 s60, 0x100, s80                                  // 000000010AE8: 803C50FF 00000100
	s_cmp_lt_u32 s60, s81                                      // 000000010AF0: BF0A513C
	s_cselect_b32 s58, s58, 0                                  // 000000010AF4: 853A803A
	v_mfma_f32_16x16x32_fp8_fp8 v[8:11], a[100:101], a[36:37], v[8:11]// 000000010AF8: D3F30008 1C224964
	s_add_u32 s60, 0x100, s80                                  // 000000010B00: 803C50FF 00000100
	s_cmp_lt_u32 s60, s81                                      // 000000010B08: BF0A513C
	s_cselect_b32 s83, s83, 0                                  // 000000010B0C: 85538053
	s_cselect_b32 s4, s4, 0                                    // 000000010B10: 85048004
	v_mfma_f32_16x16x32_fp8_fp8 v[8:11], a[102:103], a[38:39], v[8:11]// 000000010B14: D3F30008 1C224D66
	s_add_u32 s24, s58, s24                                    // 000000010B1C: 8018183A
	s_addc_u32 s25, 0, s25                                     // 000000010B20: 82191980
	v_fma_f32 v180, v12, v4, v180                              // 000000010B24: D1CB00B4 06D2090C
	v_fma_f32 v181, v13, v4, v181                              // 000000010B2C: D1CB00B5 06D6090D
	v_fma_f32 v182, v14, v4, v182                              // 000000010B34: D1CB00B6 06DA090E
	v_fma_f32 v183, v15, v4, v183                              // 000000010B3C: D1CB00B7 06DE090F
	v_mfma_f32_16x16x32_fp8_fp8 v[12:15], a[104:105], a[32:33], 0// 000000010B44: D3F3000C 1A024168
	s_add_u32 s20, s57, s20                                    // 000000010B4C: 80141439
	s_addc_u32 s21, 0, s21                                     // 000000010B50: 82151580
	s_add_u32 s28, s3, s28                                     // 000000010B54: 801C1C03
	s_addc_u32 s29, 0, s29                                     // 000000010B58: 821D1D80
	v_mfma_f32_16x16x32_fp8_fp8 v[12:15], a[106:107], a[34:35], v[12:15]// 000000010B5C: D3F3000C 1C32456A
	s_add_u32 s84, s83, s84                                    // 000000010B64: 80545453
	s_addc_u32 s85, 0, s85                                     // 000000010B68: 82555580
	v_mfma_f32_16x16x32_fp8_fp8 v[12:15], a[108:109], a[36:37], v[12:15]// 000000010B6C: D3F3000C 1C32496C
	s_add_u32 s32, s4, s32                                     // 000000010B74: 80202004
	s_addc_u32 s33, 0, s33                                     // 000000010B78: 82212180
	v_mfma_f32_16x16x32_fp8_fp8 v[12:15], a[110:111], a[38:39], v[12:15]// 000000010B7C: D3F3000C 1C324D6E
	v_fma_f32 v200, v8, v6, v200                               // 000000010B84: D1CB00C8 07220D08
	v_fma_f32 v201, v9, v6, v201                               // 000000010B8C: D1CB00C9 07260D09
	v_fma_f32 v202, v10, v6, v202                              // 000000010B94: D1CB00CA 072A0D0A
	v_fma_f32 v203, v11, v6, v203                              // 000000010B9C: D1CB00CB 072E0D0B
	v_fma_f32 v220, v12, v6, v220                              // 000000010BA4: D1CB00DC 07720D0C
	v_fma_f32 v221, v13, v6, v221                              // 000000010BAC: D1CB00DD 07760D0D
	v_fma_f32 v222, v14, v6, v222                              // 000000010BB4: D1CB00DE 077A0D0E
	v_fma_f32 v223, v15, v6, v223                              // 000000010BBC: D1CB00DF 077E0D0F
	s_addk_i32 s80, 0x80                                       // 000000010BC4: B7500080
	s_cmp_lt_i32 s80, s81                                      // 000000010BC8: BF045150
	s_cbranch_scc0 label_3BA7                                  // 000000010BCC: BF840330
	s_waitcnt vmcnt(24) lgkmcnt(0)                             // 000000010BD0: BF8C4078
	v_mul_f32_dpp v4, v26, v45 row_newbcast:0 row_mask:0xf bank_mask:0xf// 000000010BD4: 0A085AFA FF01501A
	v_mfma_f32_16x16x32_fp8_fp8 v[8:11], a[112:113], a[40:41], 0// 000000010BDC: D3F30008 1A025170
	buffer_load_dword v24, v22, s[32:35], 0 offen              // 000000010BE4: E0501000 80081816
	buffer_load_dwordx4 a[80:83], v60, s[24:27], 0 offen       // 000000010BEC: E05C1000 8086503C
	v_mfma_f32_16x16x32_fp8_fp8 v[8:11], a[114:115], a[42:43], v[8:11]// 000000010BF4: D3F30008 1C225572
	v_mfma_f32_16x16x32_fp8_fp8 v[8:11], a[116:117], a[44:45], v[8:11]// 000000010BFC: D3F30008 1C225974
	v_mfma_f32_16x16x32_fp8_fp8 v[8:11], a[118:119], a[46:47], v[8:11]// 000000010C04: D3F30008 1C225D76
	v_mfma_f32_16x16x32_fp8_fp8 v[12:15], a[120:121], a[40:41], 0// 000000010C0C: D3F3000C 1A025178
	buffer_load_dwordx4 a[84:87], v60, s[24:27], 0 offen offset:1024// 000000010C14: E05C1400 8086543C
	v_mfma_f32_16x16x32_fp8_fp8 v[12:15], a[122:123], a[42:43], v[12:15]// 000000010C1C: D3F3000C 1C32557A
	v_mfma_f32_16x16x32_fp8_fp8 v[12:15], a[124:125], a[44:45], v[12:15]// 000000010C24: D3F3000C 1C32597C
	v_mfma_f32_16x16x32_fp8_fp8 v[12:15], a[126:127], a[46:47], v[12:15]// 000000010C2C: D3F3000C 1C325D7E
	v_fma_f32 v64, v8, v4, v64                                 // 000000010C34: D1CB0040 05020908
	v_fma_f32 v65, v9, v4, v65                                 // 000000010C3C: D1CB0041 05060909
	v_fma_f32 v66, v10, v4, v66                                // 000000010C44: D1CB0042 050A090A
	v_fma_f32 v67, v11, v4, v67                                // 000000010C4C: D1CB0043 050E090B
	v_mul_f32_dpp v6, v26, v45 row_newbcast:1 row_mask:0xf bank_mask:0xf// 000000010C54: 0A0C5AFA FF01511A
	v_mfma_f32_16x16x32_fp8_fp8 v[8:11], a[128:129], a[40:41], 0// 000000010C5C: D3F30008 1A025180
	buffer_load_dwordx4 a[88:91], v61, s[24:27], 0 offen       // 000000010C64: E05C1000 8086583D
	v_mfma_f32_16x16x32_fp8_fp8 v[8:11], a[130:131], a[42:43], v[8:11]// 000000010C6C: D3F30008 1C225582
	v_mfma_f32_16x16x32_fp8_fp8 v[8:11], a[132:133], a[44:45], v[8:11]// 000000010C74: D3F30008 1C225984
	v_mfma_f32_16x16x32_fp8_fp8 v[8:11], a[134:135], a[46:47], v[8:11]// 000000010C7C: D3F30008 1C225D86
	v_fma_f32 v84, v12, v4, v84                                // 000000010C84: D1CB0054 0552090C
	v_fma_f32 v85, v13, v4, v85                                // 000000010C8C: D1CB0055 0556090D
	v_fma_f32 v86, v14, v4, v86                                // 000000010C94: D1CB0056 055A090E
	v_fma_f32 v87, v15, v4, v87                                // 000000010C9C: D1CB0057 055E090F
	v_mfma_f32_16x16x32_fp8_fp8 v[12:15], a[136:137], a[40:41], 0// 000000010CA4: D3F3000C 1A025188
	buffer_load_dwordx4 a[92:95], v61, s[24:27], 0 offen offset:1024// 000000010CAC: E05C1400 80865C3D
	v_mfma_f32_16x16x32_fp8_fp8 v[12:15], a[138:139], a[42:43], v[12:15]// 000000010CB4: D3F3000C 1C32558A
	v_mfma_f32_16x16x32_fp8_fp8 v[12:15], a[140:141], a[44:45], v[12:15]// 000000010CBC: D3F3000C 1C32598C
	v_mfma_f32_16x16x32_fp8_fp8 v[12:15], a[142:143], a[46:47], v[12:15]// 000000010CC4: D3F3000C 1C325D8E
	v_fma_f32 v104, v8, v6, v104                               // 000000010CCC: D1CB0068 05A20D08
	v_fma_f32 v105, v9, v6, v105                               // 000000010CD4: D1CB0069 05A60D09
	v_fma_f32 v106, v10, v6, v106                              // 000000010CDC: D1CB006A 05AA0D0A
	v_fma_f32 v107, v11, v6, v107                              // 000000010CE4: D1CB006B 05AE0D0B
	v_mul_f32_dpp v4, v26, v46 row_newbcast:0 row_mask:0xf bank_mask:0xf// 000000010CEC: 0A085CFA FF01501A
	v_mfma_f32_16x16x32_fp8_fp8 v[8:11], a[112:113], a[48:49], 0// 000000010CF4: D3F30008 1A026170
	buffer_load_dwordx4 a[96:99], v62, s[24:27], 0 offen       // 000000010CFC: E05C1000 8086603E
	v_mfma_f32_16x16x32_fp8_fp8 v[8:11], a[114:115], a[50:51], v[8:11]// 000000010D04: D3F30008 1C226572
	v_mfma_f32_16x16x32_fp8_fp8 v[8:11], a[116:117], a[52:53], v[8:11]// 000000010D0C: D3F30008 1C226974
	v_mfma_f32_16x16x32_fp8_fp8 v[8:11], a[118:119], a[54:55], v[8:11]// 000000010D14: D3F30008 1C226D76
	v_fma_f32 v124, v12, v6, v124                              // 000000010D1C: D1CB007C 05F20D0C
	v_fma_f32 v125, v13, v6, v125                              // 000000010D24: D1CB007D 05F60D0D
	v_fma_f32 v126, v14, v6, v126                              // 000000010D2C: D1CB007E 05FA0D0E
	v_fma_f32 v127, v15, v6, v127                              // 000000010D34: D1CB007F 05FE0D0F
	v_mfma_f32_16x16x32_fp8_fp8 v[12:15], a[120:121], a[48:49], 0// 000000010D3C: D3F3000C 1A026178
	buffer_load_dwordx4 a[100:103], v62, s[24:27], 0 offen offset:1024// 000000010D44: E05C1400 8086643E
	v_mfma_f32_16x16x32_fp8_fp8 v[12:15], a[122:123], a[50:51], v[12:15]// 000000010D4C: D3F3000C 1C32657A
	v_mfma_f32_16x16x32_fp8_fp8 v[12:15], a[124:125], a[52:53], v[12:15]// 000000010D54: D3F3000C 1C32697C
	v_mfma_f32_16x16x32_fp8_fp8 v[12:15], a[126:127], a[54:55], v[12:15]// 000000010D5C: D3F3000C 1C326D7E
	v_fma_f32 v68, v8, v4, v68                                 // 000000010D64: D1CB0044 05120908
	v_fma_f32 v69, v9, v4, v69                                 // 000000010D6C: D1CB0045 05160909
	v_fma_f32 v70, v10, v4, v70                                // 000000010D74: D1CB0046 051A090A
	v_fma_f32 v71, v11, v4, v71                                // 000000010D7C: D1CB0047 051E090B
	v_mul_f32_dpp v6, v26, v46 row_newbcast:1 row_mask:0xf bank_mask:0xf// 000000010D84: 0A0C5CFA FF01511A
	v_mfma_f32_16x16x32_fp8_fp8 v[8:11], a[128:129], a[48:49], 0// 000000010D8C: D3F30008 1A026180
	buffer_load_dwordx4 a[104:107], v63, s[24:27], 0 offen     // 000000010D94: E05C1000 8086683F
	v_mfma_f32_16x16x32_fp8_fp8 v[8:11], a[130:131], a[50:51], v[8:11]// 000000010D9C: D3F30008 1C226582
	v_mfma_f32_16x16x32_fp8_fp8 v[8:11], a[132:133], a[52:53], v[8:11]// 000000010DA4: D3F30008 1C226984
	v_mfma_f32_16x16x32_fp8_fp8 v[8:11], a[134:135], a[54:55], v[8:11]// 000000010DAC: D3F30008 1C226D86
	v_fma_f32 v88, v12, v4, v88                                // 000000010DB4: D1CB0058 0562090C
	v_fma_f32 v89, v13, v4, v89                                // 000000010DBC: D1CB0059 0566090D
	v_fma_f32 v90, v14, v4, v90                                // 000000010DC4: D1CB005A 056A090E
	v_fma_f32 v91, v15, v4, v91                                // 000000010DCC: D1CB005B 056E090F
	v_mfma_f32_16x16x32_fp8_fp8 v[12:15], a[136:137], a[48:49], 0// 000000010DD4: D3F3000C 1A026188
	buffer_load_dwordx4 a[108:111], v63, s[24:27], 0 offen offset:1024// 000000010DDC: E05C1400 80866C3F
	buffer_load_dword v50, s[20:23], 0 offen lds               // 000000010DE4: E0511000 80050032
	s_add_u32 m0, 0x100, s49                                   // 000000010DEC: 807C31FF 00000100
	v_mfma_f32_16x16x32_fp8_fp8 v[12:15], a[138:139], a[50:51], v[12:15]// 000000010DF4: D3F3000C 1C32658A
	v_mfma_f32_16x16x32_fp8_fp8 v[12:15], a[140:141], a[52:53], v[12:15]// 000000010DFC: D3F3000C 1C32698C
	buffer_load_dword v51, s[20:23], 0 offen lds               // 000000010E04: E0511000 80050033
	s_add_u32 m0, 0x200, s49                                   // 000000010E0C: 807C31FF 00000200
	v_mfma_f32_16x16x32_fp8_fp8 v[12:15], a[142:143], a[54:55], v[12:15]// 000000010E14: D3F3000C 1C326D8E
	v_fma_f32 v108, v8, v6, v108                               // 000000010E1C: D1CB006C 05B20D08
	v_fma_f32 v109, v9, v6, v109                               // 000000010E24: D1CB006D 05B60D09
	v_fma_f32 v110, v10, v6, v110                              // 000000010E2C: D1CB006E 05BA0D0A
	v_fma_f32 v111, v11, v6, v111                              // 000000010E34: D1CB006F 05BE0D0B
	v_mul_f32_dpp v4, v26, v47 row_newbcast:0 row_mask:0xf bank_mask:0xf// 000000010E3C: 0A085EFA FF01501A
	v_mfma_f32_16x16x32_fp8_fp8 v[8:11], a[112:113], a[56:57], 0// 000000010E44: D3F30008 1A027170
	buffer_load_dword v52, s[20:23], 0 offen lds               // 000000010E4C: E0511000 80050034
	s_add_u32 m0, 0x300, s49                                   // 000000010E54: 807C31FF 00000300
	v_mfma_f32_16x16x32_fp8_fp8 v[8:11], a[114:115], a[58:59], v[8:11]// 000000010E5C: D3F30008 1C227572
	v_mfma_f32_16x16x32_fp8_fp8 v[8:11], a[116:117], a[60:61], v[8:11]// 000000010E64: D3F30008 1C227974
	buffer_load_dword v53, s[20:23], 0 offen lds               // 000000010E6C: E0511000 80050035
	s_add_u32 m0, 0x400, s49                                   // 000000010E74: 807C31FF 00000400
	v_mfma_f32_16x16x32_fp8_fp8 v[8:11], a[118:119], a[62:63], v[8:11]// 000000010E7C: D3F30008 1C227D76
	v_fma_f32 v128, v12, v6, v128                              // 000000010E84: D1CB0080 06020D0C
	v_fma_f32 v129, v13, v6, v129                              // 000000010E8C: D1CB0081 06060D0D
	v_fma_f32 v130, v14, v6, v130                              // 000000010E94: D1CB0082 060A0D0E
	v_fma_f32 v131, v15, v6, v131                              // 000000010E9C: D1CB0083 060E0D0F
	v_mfma_f32_16x16x32_fp8_fp8 v[12:15], a[120:121], a[56:57], 0// 000000010EA4: D3F3000C 1A027178
	buffer_load_dword v54, s[20:23], 0 offen lds               // 000000010EAC: E0511000 80050036
	s_add_u32 m0, 0x500, s49                                   // 000000010EB4: 807C31FF 00000500
	v_mfma_f32_16x16x32_fp8_fp8 v[12:15], a[122:123], a[58:59], v[12:15]// 000000010EBC: D3F3000C 1C32757A
	v_mfma_f32_16x16x32_fp8_fp8 v[12:15], a[124:125], a[60:61], v[12:15]// 000000010EC4: D3F3000C 1C32797C
	buffer_load_dword v55, s[20:23], 0 offen lds               // 000000010ECC: E0511000 80050037
	s_add_u32 m0, 0x600, s49                                   // 000000010ED4: 807C31FF 00000600
	v_mfma_f32_16x16x32_fp8_fp8 v[12:15], a[126:127], a[62:63], v[12:15]// 000000010EDC: D3F3000C 1C327D7E
	v_fma_f32 v72, v8, v4, v72                                 // 000000010EE4: D1CB0048 05220908
	v_fma_f32 v73, v9, v4, v73                                 // 000000010EEC: D1CB0049 05260909
	v_fma_f32 v74, v10, v4, v74                                // 000000010EF4: D1CB004A 052A090A
	v_fma_f32 v75, v11, v4, v75                                // 000000010EFC: D1CB004B 052E090B
	v_mul_f32_dpp v6, v26, v47 row_newbcast:1 row_mask:0xf bank_mask:0xf// 000000010F04: 0A0C5EFA FF01511A
	v_mfma_f32_16x16x32_fp8_fp8 v[8:11], a[128:129], a[56:57], 0// 000000010F0C: D3F30008 1A027180
	buffer_load_dword v56, s[20:23], 0 offen lds               // 000000010F14: E0511000 80050038
	s_add_u32 m0, 0x700, s49                                   // 000000010F1C: 807C31FF 00000700
	v_mfma_f32_16x16x32_fp8_fp8 v[8:11], a[130:131], a[58:59], v[8:11]// 000000010F24: D3F30008 1C227582
	v_mfma_f32_16x16x32_fp8_fp8 v[8:11], a[132:133], a[60:61], v[8:11]// 000000010F2C: D3F30008 1C227984
	buffer_load_dword v57, s[20:23], 0 offen lds               // 000000010F34: E0511000 80050039
	s_add_u32 m0, 0x800, s49                                   // 000000010F3C: 807C31FF 00000800
	v_mfma_f32_16x16x32_fp8_fp8 v[8:11], a[134:135], a[62:63], v[8:11]// 000000010F44: D3F30008 1C227D86
	v_fma_f32 v92, v12, v4, v92                                // 000000010F4C: D1CB005C 0572090C
	v_fma_f32 v93, v13, v4, v93                                // 000000010F54: D1CB005D 0576090D
	v_fma_f32 v94, v14, v4, v94                                // 000000010F5C: D1CB005E 057A090E
	v_fma_f32 v95, v15, v4, v95                                // 000000010F64: D1CB005F 057E090F
	v_mfma_f32_16x16x32_fp8_fp8 v[12:15], a[136:137], a[56:57], 0// 000000010F6C: D3F3000C 1A027188
	buffer_load_dword v58, s[20:23], 0 offen lds               // 000000010F74: E0511000 8005003A
	s_add_u32 m0, 0x900, s49                                   // 000000010F7C: 807C31FF 00000900
	v_mfma_f32_16x16x32_fp8_fp8 v[12:15], a[138:139], a[58:59], v[12:15]// 000000010F84: D3F3000C 1C32758A
	v_mfma_f32_16x16x32_fp8_fp8 v[12:15], a[140:141], a[60:61], v[12:15]// 000000010F8C: D3F3000C 1C32798C
	buffer_load_dword v59, s[20:23], 0 offen lds               // 000000010F94: E0511000 8005003B
	s_add_u32 m0, 0, s50                                       // 000000010F9C: 807C3280
	v_mfma_f32_16x16x32_fp8_fp8 v[12:15], a[142:143], a[62:63], v[12:15]// 000000010FA0: D3F3000C 1C327D8E
	v_fma_f32 v112, v8, v6, v112                               // 000000010FA8: D1CB0070 05C20D08
	v_fma_f32 v113, v9, v6, v113                               // 000000010FB0: D1CB0071 05C60D09
	v_fma_f32 v114, v10, v6, v114                              // 000000010FB8: D1CB0072 05CA0D0A
	v_fma_f32 v115, v11, v6, v115                              // 000000010FC0: D1CB0073 05CE0D0B
	v_mul_f32_dpp v4, v26, v48 row_newbcast:0 row_mask:0xf bank_mask:0xf// 000000010FC8: 0A0860FA FF01501A
	v_mfma_f32_16x16x32_fp8_fp8 v[8:11], a[112:113], a[64:65], 0// 000000010FD0: D3F30008 1A028170
	buffer_load_dword v40, v30, s[28:31], 0 offen              // 000000010FD8: E0501000 8007281E
	v_mfma_f32_16x16x32_fp8_fp8 v[8:11], a[114:115], a[66:67], v[8:11]// 000000010FE0: D3F30008 1C228572
	v_mfma_f32_16x16x32_fp8_fp8 v[8:11], a[116:117], a[68:69], v[8:11]// 000000010FE8: D3F30008 1C228974
	buffer_load_dword v41, v31, s[28:31], 0 offen              // 000000010FF0: E0501000 8007291F
	v_mfma_f32_16x16x32_fp8_fp8 v[8:11], a[118:119], a[70:71], v[8:11]// 000000010FF8: D3F30008 1C228D76
	v_fma_f32 v132, v12, v6, v132                              // 000000011000: D1CB0084 06120D0C
	v_fma_f32 v133, v13, v6, v133                              // 000000011008: D1CB0085 06160D0D
	v_fma_f32 v134, v14, v6, v134                              // 000000011010: D1CB0086 061A0D0E
	v_fma_f32 v135, v15, v6, v135                              // 000000011018: D1CB0087 061E0D0F
	v_mfma_f32_16x16x32_fp8_fp8 v[12:15], a[120:121], a[64:65], 0// 000000011020: D3F3000C 1A028178
	buffer_load_dword v42, v32, s[28:31], 0 offen              // 000000011028: E0501000 80072A20
	v_mfma_f32_16x16x32_fp8_fp8 v[12:15], a[122:123], a[66:67], v[12:15]// 000000011030: D3F3000C 1C32857A
	v_mfma_f32_16x16x32_fp8_fp8 v[12:15], a[124:125], a[68:69], v[12:15]// 000000011038: D3F3000C 1C32897C
	buffer_load_dword v43, v33, s[28:31], 0 offen              // 000000011040: E0501000 80072B21
	v_mfma_f32_16x16x32_fp8_fp8 v[12:15], a[126:127], a[70:71], v[12:15]// 000000011048: D3F3000C 1C328D7E
	v_fma_f32 v76, v8, v4, v76                                 // 000000011050: D1CB004C 05320908
	v_fma_f32 v77, v9, v4, v77                                 // 000000011058: D1CB004D 05360909
	v_fma_f32 v78, v10, v4, v78                                // 000000011060: D1CB004E 053A090A
	v_fma_f32 v79, v11, v4, v79                                // 000000011068: D1CB004F 053E090B
	v_mul_f32_dpp v6, v26, v48 row_newbcast:1 row_mask:0xf bank_mask:0xf// 000000011070: 0A0C60FA FF01511A
	v_mfma_f32_16x16x32_fp8_fp8 v[8:11], a[128:129], a[64:65], 0// 000000011078: D3F30008 1A028180
	buffer_load_dword v44, v34, s[28:31], 0 offen              // 000000011080: E0501000 80072C22
	v_mfma_f32_16x16x32_fp8_fp8 v[8:11], a[130:131], a[66:67], v[8:11]// 000000011088: D3F30008 1C228582
	v_mfma_f32_16x16x32_fp8_fp8 v[8:11], a[132:133], a[68:69], v[8:11]// 000000011090: D3F30008 1C228984
	v_mfma_f32_16x16x32_fp8_fp8 v[8:11], a[134:135], a[70:71], v[8:11]// 000000011098: D3F30008 1C228D86
	v_fma_f32 v96, v12, v4, v96                                // 0000000110A0: D1CB0060 0582090C
	v_fma_f32 v97, v13, v4, v97                                // 0000000110A8: D1CB0061 0586090D
	v_fma_f32 v98, v14, v4, v98                                // 0000000110B0: D1CB0062 058A090E
	v_fma_f32 v99, v15, v4, v99                                // 0000000110B8: D1CB0063 058E090F
	v_mfma_f32_16x16x32_fp8_fp8 v[12:15], a[136:137], a[64:65], 0// 0000000110C0: D3F3000C 1A028188
	v_mfma_f32_16x16x32_fp8_fp8 v[12:15], a[138:139], a[66:67], v[12:15]// 0000000110C8: D3F3000C 1C32858A
	v_mfma_f32_16x16x32_fp8_fp8 v[12:15], a[140:141], a[68:69], v[12:15]// 0000000110D0: D3F3000C 1C32898C
	v_mfma_f32_16x16x32_fp8_fp8 v[12:15], a[142:143], a[70:71], v[12:15]// 0000000110D8: D3F3000C 1C328D8E
	v_fma_f32 v116, v8, v6, v116                               // 0000000110E0: D1CB0074 05D20D08
	v_fma_f32 v117, v9, v6, v117                               // 0000000110E8: D1CB0075 05D60D09
	v_fma_f32 v118, v10, v6, v118                              // 0000000110F0: D1CB0076 05DA0D0A
	v_fma_f32 v119, v11, v6, v119                              // 0000000110F8: D1CB0077 05DE0D0B
	v_mul_f32_dpp v4, v26, v49 row_newbcast:0 row_mask:0xf bank_mask:0xf// 000000011100: 0A0862FA FF01501A
	v_mfma_f32_16x16x32_fp8_fp8 v[8:11], a[112:113], a[72:73], 0// 000000011108: D3F30008 1A029170
	v_mfma_f32_16x16x32_fp8_fp8 v[8:11], a[114:115], a[74:75], v[8:11]// 000000011110: D3F30008 1C229572
	v_mfma_f32_16x16x32_fp8_fp8 v[8:11], a[116:117], a[76:77], v[8:11]// 000000011118: D3F30008 1C229974
	v_mfma_f32_16x16x32_fp8_fp8 v[8:11], a[118:119], a[78:79], v[8:11]// 000000011120: D3F30008 1C229D76
	v_fma_f32 v136, v12, v6, v136                              // 000000011128: D1CB0088 06220D0C
	v_fma_f32 v137, v13, v6, v137                              // 000000011130: D1CB0089 06260D0D
	v_fma_f32 v138, v14, v6, v138                              // 000000011138: D1CB008A 062A0D0E
	v_fma_f32 v139, v15, v6, v139                              // 000000011140: D1CB008B 062E0D0F
	v_mfma_f32_16x16x32_fp8_fp8 v[12:15], a[120:121], a[72:73], 0// 000000011148: D3F3000C 1A029178
	v_mfma_f32_16x16x32_fp8_fp8 v[12:15], a[122:123], a[74:75], v[12:15]// 000000011150: D3F3000C 1C32957A
	v_mfma_f32_16x16x32_fp8_fp8 v[12:15], a[124:125], a[76:77], v[12:15]// 000000011158: D3F3000C 1C32997C
	v_mfma_f32_16x16x32_fp8_fp8 v[12:15], a[126:127], a[78:79], v[12:15]// 000000011160: D3F3000C 1C329D7E
	v_fma_f32 v80, v8, v4, v80                                 // 000000011168: D1CB0050 05420908
	v_fma_f32 v81, v9, v4, v81                                 // 000000011170: D1CB0051 05460909
	v_fma_f32 v82, v10, v4, v82                                // 000000011178: D1CB0052 054A090A
	v_fma_f32 v83, v11, v4, v83                                // 000000011180: D1CB0053 054E090B
	v_mul_f32_dpp v6, v26, v49 row_newbcast:1 row_mask:0xf bank_mask:0xf// 000000011188: 0A0C62FA FF01511A
	v_mfma_f32_16x16x32_fp8_fp8 v[8:11], a[128:129], a[72:73], 0// 000000011190: D3F30008 1A029180
	v_mfma_f32_16x16x32_fp8_fp8 v[8:11], a[130:131], a[74:75], v[8:11]// 000000011198: D3F30008 1C229582
	v_mfma_f32_16x16x32_fp8_fp8 v[8:11], a[132:133], a[76:77], v[8:11]// 0000000111A0: D3F30008 1C229984
	v_mfma_f32_16x16x32_fp8_fp8 v[8:11], a[134:135], a[78:79], v[8:11]// 0000000111A8: D3F30008 1C229D86
	v_fma_f32 v100, v12, v4, v100                              // 0000000111B0: D1CB0064 0592090C
	v_fma_f32 v101, v13, v4, v101                              // 0000000111B8: D1CB0065 0596090D
	v_fma_f32 v102, v14, v4, v102                              // 0000000111C0: D1CB0066 059A090E
	v_fma_f32 v103, v15, v4, v103                              // 0000000111C8: D1CB0067 059E090F
	v_mfma_f32_16x16x32_fp8_fp8 v[12:15], a[136:137], a[72:73], 0// 0000000111D0: D3F3000C 1A029188
	v_mfma_f32_16x16x32_fp8_fp8 v[12:15], a[138:139], a[74:75], v[12:15]// 0000000111D8: D3F3000C 1C32958A
	v_mfma_f32_16x16x32_fp8_fp8 v[12:15], a[140:141], a[76:77], v[12:15]// 0000000111E0: D3F3000C 1C32998C
	v_mfma_f32_16x16x32_fp8_fp8 v[12:15], a[142:143], a[78:79], v[12:15]// 0000000111E8: D3F3000C 1C329D8E
	v_fma_f32 v120, v8, v6, v120                               // 0000000111F0: D1CB0078 05E20D08
	v_fma_f32 v121, v9, v6, v121                               // 0000000111F8: D1CB0079 05E60D09
	v_fma_f32 v122, v10, v6, v122                              // 000000011200: D1CB007A 05EA0D0A
	v_fma_f32 v123, v11, v6, v123                              // 000000011208: D1CB007B 05EE0D0B
	v_fma_f32 v140, v12, v6, v140                              // 000000011210: D1CB008C 06320D0C
	v_fma_f32 v141, v13, v6, v141                              // 000000011218: D1CB008D 06360D0D
	v_fma_f32 v142, v14, v6, v142                              // 000000011220: D1CB008E 063A0D0E
	v_fma_f32 v143, v15, v6, v143                              // 000000011228: D1CB008F 063E0D0F
	s_waitcnt vmcnt(24)                                        // 000000011230: BF8C4F78
	s_barrier                                                  // 000000011234: BF8A0000
	v_mul_f32_dpp v4, v29, v45 row_newbcast:0 row_mask:0xf bank_mask:0xf// 000000011238: 0A085AFA FF01501D
	v_mfma_f32_16x16x32_fp8_fp8 v[8:11], a[144:145], a[40:41], 0// 000000011240: D3F30008 1A025190
	buffer_load_dword v27, v23, s[32:35], 0 offen              // 000000011248: E0501000 80081B17
	buffer_load_dwordx4 a[112:115], v60, s[84:87], 0 offen     // 000000011250: E05C1000 8095703C
	v_mfma_f32_16x16x32_fp8_fp8 v[8:11], a[146:147], a[42:43], v[8:11]// 000000011258: D3F30008 1C225592
	v_mfma_f32_16x16x32_fp8_fp8 v[8:11], a[148:149], a[44:45], v[8:11]// 000000011260: D3F30008 1C225994
	ds_read_b128 a[0:3], v2                                    // 000000011268: DBFE0000 00000002
	ds_read_b128 a[4:7], v2 offset:64                          // 000000011270: DBFE0040 04000002
	v_mfma_f32_16x16x32_fp8_fp8 v[8:11], a[150:151], a[46:47], v[8:11]// 000000011278: D3F30008 1C225D96
	v_mfma_f32_16x16x32_fp8_fp8 v[12:15], a[152:153], a[40:41], 0// 000000011280: D3F3000C 1A025198
	buffer_load_dwordx4 a[116:119], v60, s[84:87], 0 offen offset:1024// 000000011288: E05C1400 8095743C
	v_mfma_f32_16x16x32_fp8_fp8 v[12:15], a[154:155], a[42:43], v[12:15]// 000000011290: D3F3000C 1C32559A
	v_mfma_f32_16x16x32_fp8_fp8 v[12:15], a[156:157], a[44:45], v[12:15]// 000000011298: D3F3000C 1C32599C
	ds_read_b128 a[8:11], v2 offset:512                        // 0000000112A0: DBFE0200 08000002
	ds_read_b128 a[12:15], v2 offset:576                       // 0000000112A8: DBFE0240 0C000002
	v_mfma_f32_16x16x32_fp8_fp8 v[12:15], a[158:159], a[46:47], v[12:15]// 0000000112B0: D3F3000C 1C325D9E
	v_fma_f32 v144, v8, v4, v144                               // 0000000112B8: D1CB0090 06420908
	v_fma_f32 v145, v9, v4, v145                               // 0000000112C0: D1CB0091 06460909
	v_fma_f32 v146, v10, v4, v146                              // 0000000112C8: D1CB0092 064A090A
	v_fma_f32 v147, v11, v4, v147                              // 0000000112D0: D1CB0093 064E090B
	v_mul_f32_dpp v6, v29, v45 row_newbcast:1 row_mask:0xf bank_mask:0xf// 0000000112D8: 0A0C5AFA FF01511D
	v_mfma_f32_16x16x32_fp8_fp8 v[8:11], a[160:161], a[40:41], 0// 0000000112E0: D3F30008 1A0251A0
	buffer_load_dwordx4 a[120:123], v61, s[84:87], 0 offen     // 0000000112E8: E05C1000 8095783D
	v_mfma_f32_16x16x32_fp8_fp8 v[8:11], a[162:163], a[42:43], v[8:11]// 0000000112F0: D3F30008 1C2255A2
	v_mfma_f32_16x16x32_fp8_fp8 v[8:11], a[164:165], a[44:45], v[8:11]// 0000000112F8: D3F30008 1C2259A4
	ds_read_b128 a[16:19], v2 offset:1024                      // 000000011300: DBFE0400 10000002
	ds_read_b128 a[20:23], v2 offset:1088                      // 000000011308: DBFE0440 14000002
	v_mfma_f32_16x16x32_fp8_fp8 v[8:11], a[166:167], a[46:47], v[8:11]// 000000011310: D3F30008 1C225DA6
	v_fma_f32 v164, v12, v4, v164                              // 000000011318: D1CB00A4 0692090C
	v_fma_f32 v165, v13, v4, v165                              // 000000011320: D1CB00A5 0696090D
	v_fma_f32 v166, v14, v4, v166                              // 000000011328: D1CB00A6 069A090E
	v_fma_f32 v167, v15, v4, v167                              // 000000011330: D1CB00A7 069E090F
	v_mfma_f32_16x16x32_fp8_fp8 v[12:15], a[168:169], a[40:41], 0// 000000011338: D3F3000C 1A0251A8
	buffer_load_dwordx4 a[124:127], v61, s[84:87], 0 offen offset:1024// 000000011340: E05C1400 80957C3D
	v_mfma_f32_16x16x32_fp8_fp8 v[12:15], a[170:171], a[42:43], v[12:15]// 000000011348: D3F3000C 1C3255AA
	v_mfma_f32_16x16x32_fp8_fp8 v[12:15], a[172:173], a[44:45], v[12:15]// 000000011350: D3F3000C 1C3259AC
	ds_read_b128 a[24:27], v2 offset:1536                      // 000000011358: DBFE0600 18000002
	ds_read_b128 a[28:31], v2 offset:1600                      // 000000011360: DBFE0640 1C000002
	v_mfma_f32_16x16x32_fp8_fp8 v[12:15], a[174:175], a[46:47], v[12:15]// 000000011368: D3F3000C 1C325DAE
	v_fma_f32 v184, v8, v6, v184                               // 000000011370: D1CB00B8 06E20D08
	v_fma_f32 v185, v9, v6, v185                               // 000000011378: D1CB00B9 06E60D09
	v_fma_f32 v186, v10, v6, v186                              // 000000011380: D1CB00BA 06EA0D0A
	v_fma_f32 v187, v11, v6, v187                              // 000000011388: D1CB00BB 06EE0D0B
	v_mul_f32_dpp v4, v29, v46 row_newbcast:0 row_mask:0xf bank_mask:0xf// 000000011390: 0A085CFA FF01501D
	v_mfma_f32_16x16x32_fp8_fp8 v[8:11], a[144:145], a[48:49], 0// 000000011398: D3F30008 1A026190
	buffer_load_dwordx4 a[128:131], v62, s[84:87], 0 offen     // 0000000113A0: E05C1000 8095803E
	v_mfma_f32_16x16x32_fp8_fp8 v[8:11], a[146:147], a[50:51], v[8:11]// 0000000113A8: D3F30008 1C226592
	v_mfma_f32_16x16x32_fp8_fp8 v[8:11], a[148:149], a[52:53], v[8:11]// 0000000113B0: D3F30008 1C226994
	ds_read_b128 a[32:35], v2 offset:2048                      // 0000000113B8: DBFE0800 20000002
	ds_read_b128 a[36:39], v2 offset:2112                      // 0000000113C0: DBFE0840 24000002
	v_mfma_f32_16x16x32_fp8_fp8 v[8:11], a[150:151], a[54:55], v[8:11]// 0000000113C8: D3F30008 1C226D96
	v_fma_f32 v204, v12, v6, v204                              // 0000000113D0: D1CB00CC 07320D0C
	v_fma_f32 v205, v13, v6, v205                              // 0000000113D8: D1CB00CD 07360D0D
	v_fma_f32 v206, v14, v6, v206                              // 0000000113E0: D1CB00CE 073A0D0E
	v_fma_f32 v207, v15, v6, v207                              // 0000000113E8: D1CB00CF 073E0D0F
	v_mfma_f32_16x16x32_fp8_fp8 v[12:15], a[152:153], a[48:49], 0// 0000000113F0: D3F3000C 1A026198
	buffer_load_dwordx4 a[132:135], v62, s[84:87], 0 offen offset:1024// 0000000113F8: E05C1400 8095843E
	v_mfma_f32_16x16x32_fp8_fp8 v[12:15], a[154:155], a[50:51], v[12:15]// 000000011400: D3F3000C 1C32659A
	v_mfma_f32_16x16x32_fp8_fp8 v[12:15], a[156:157], a[52:53], v[12:15]// 000000011408: D3F3000C 1C32699C
	v_mfma_f32_16x16x32_fp8_fp8 v[12:15], a[158:159], a[54:55], v[12:15]// 000000011410: D3F3000C 1C326D9E
	v_fma_f32 v148, v8, v4, v148                               // 000000011418: D1CB0094 06520908
	v_fma_f32 v149, v9, v4, v149                               // 000000011420: D1CB0095 06560909
	v_fma_f32 v150, v10, v4, v150                              // 000000011428: D1CB0096 065A090A
	v_fma_f32 v151, v11, v4, v151                              // 000000011430: D1CB0097 065E090B
	v_mul_f32_dpp v6, v29, v46 row_newbcast:1 row_mask:0xf bank_mask:0xf// 000000011438: 0A0C5CFA FF01511D
	v_mfma_f32_16x16x32_fp8_fp8 v[8:11], a[160:161], a[48:49], 0// 000000011440: D3F30008 1A0261A0
	buffer_load_dwordx4 a[136:139], v63, s[84:87], 0 offen     // 000000011448: E05C1000 8095883F
	v_mfma_f32_16x16x32_fp8_fp8 v[8:11], a[162:163], a[50:51], v[8:11]// 000000011450: D3F30008 1C2265A2
	v_mfma_f32_16x16x32_fp8_fp8 v[8:11], a[164:165], a[52:53], v[8:11]// 000000011458: D3F30008 1C2269A4
	v_mfma_f32_16x16x32_fp8_fp8 v[8:11], a[166:167], a[54:55], v[8:11]// 000000011460: D3F30008 1C226DA6
	v_fma_f32 v168, v12, v4, v168                              // 000000011468: D1CB00A8 06A2090C
	v_fma_f32 v169, v13, v4, v169                              // 000000011470: D1CB00A9 06A6090D
	v_fma_f32 v170, v14, v4, v170                              // 000000011478: D1CB00AA 06AA090E
	v_fma_f32 v171, v15, v4, v171                              // 000000011480: D1CB00AB 06AE090F
	v_mfma_f32_16x16x32_fp8_fp8 v[12:15], a[168:169], a[48:49], 0// 000000011488: D3F3000C 1A0261A8
	buffer_load_dwordx4 a[140:143], v63, s[84:87], 0 offen offset:1024// 000000011490: E05C1400 80958C3F
	v_mfma_f32_16x16x32_fp8_fp8 v[12:15], a[170:171], a[50:51], v[12:15]// 000000011498: D3F3000C 1C3265AA
	v_mfma_f32_16x16x32_fp8_fp8 v[12:15], a[172:173], a[52:53], v[12:15]// 0000000114A0: D3F3000C 1C3269AC
	v_mfma_f32_16x16x32_fp8_fp8 v[12:15], a[174:175], a[54:55], v[12:15]// 0000000114A8: D3F3000C 1C326DAE
	v_fma_f32 v188, v8, v6, v188                               // 0000000114B0: D1CB00BC 06F20D08
	v_fma_f32 v189, v9, v6, v189                               // 0000000114B8: D1CB00BD 06F60D09
	v_fma_f32 v190, v10, v6, v190                              // 0000000114C0: D1CB00BE 06FA0D0A
	v_fma_f32 v191, v11, v6, v191                              // 0000000114C8: D1CB00BF 06FE0D0B
	v_mul_f32_dpp v4, v29, v47 row_newbcast:0 row_mask:0xf bank_mask:0xf// 0000000114D0: 0A085EFA FF01501D
	v_mfma_f32_16x16x32_fp8_fp8 v[8:11], a[144:145], a[56:57], 0// 0000000114D8: D3F30008 1A027190
	v_mfma_f32_16x16x32_fp8_fp8 v[8:11], a[146:147], a[58:59], v[8:11]// 0000000114E0: D3F30008 1C227592
	v_mfma_f32_16x16x32_fp8_fp8 v[8:11], a[148:149], a[60:61], v[8:11]// 0000000114E8: D3F30008 1C227994
	v_mfma_f32_16x16x32_fp8_fp8 v[8:11], a[150:151], a[62:63], v[8:11]// 0000000114F0: D3F30008 1C227D96
	v_fma_f32 v208, v12, v6, v208                              // 0000000114F8: D1CB00D0 07420D0C
	v_fma_f32 v209, v13, v6, v209                              // 000000011500: D1CB00D1 07460D0D
	v_fma_f32 v210, v14, v6, v210                              // 000000011508: D1CB00D2 074A0D0E
	v_fma_f32 v211, v15, v6, v211                              // 000000011510: D1CB00D3 074E0D0F
	v_mfma_f32_16x16x32_fp8_fp8 v[12:15], a[152:153], a[56:57], 0// 000000011518: D3F3000C 1A027198
	v_mfma_f32_16x16x32_fp8_fp8 v[12:15], a[154:155], a[58:59], v[12:15]// 000000011520: D3F3000C 1C32759A
	v_mfma_f32_16x16x32_fp8_fp8 v[12:15], a[156:157], a[60:61], v[12:15]// 000000011528: D3F3000C 1C32799C
	v_mfma_f32_16x16x32_fp8_fp8 v[12:15], a[158:159], a[62:63], v[12:15]// 000000011530: D3F3000C 1C327D9E
	v_fma_f32 v152, v8, v4, v152                               // 000000011538: D1CB0098 06620908
	v_fma_f32 v153, v9, v4, v153                               // 000000011540: D1CB0099 06660909
	v_fma_f32 v154, v10, v4, v154                              // 000000011548: D1CB009A 066A090A
	v_fma_f32 v155, v11, v4, v155                              // 000000011550: D1CB009B 066E090B
	v_mul_f32_dpp v6, v29, v47 row_newbcast:1 row_mask:0xf bank_mask:0xf// 000000011558: 0A0C5EFA FF01511D
	v_mfma_f32_16x16x32_fp8_fp8 v[8:11], a[160:161], a[56:57], 0// 000000011560: D3F30008 1A0271A0
	v_mfma_f32_16x16x32_fp8_fp8 v[8:11], a[162:163], a[58:59], v[8:11]// 000000011568: D3F30008 1C2275A2
	v_mfma_f32_16x16x32_fp8_fp8 v[8:11], a[164:165], a[60:61], v[8:11]// 000000011570: D3F30008 1C2279A4
	v_mfma_f32_16x16x32_fp8_fp8 v[8:11], a[166:167], a[62:63], v[8:11]// 000000011578: D3F30008 1C227DA6
	v_fma_f32 v172, v12, v4, v172                              // 000000011580: D1CB00AC 06B2090C
	v_fma_f32 v173, v13, v4, v173                              // 000000011588: D1CB00AD 06B6090D
	v_fma_f32 v174, v14, v4, v174                              // 000000011590: D1CB00AE 06BA090E
	v_fma_f32 v175, v15, v4, v175                              // 000000011598: D1CB00AF 06BE090F
	v_mfma_f32_16x16x32_fp8_fp8 v[12:15], a[168:169], a[56:57], 0// 0000000115A0: D3F3000C 1A0271A8
	v_mfma_f32_16x16x32_fp8_fp8 v[12:15], a[170:171], a[58:59], v[12:15]// 0000000115A8: D3F3000C 1C3275AA
	v_mfma_f32_16x16x32_fp8_fp8 v[12:15], a[172:173], a[60:61], v[12:15]// 0000000115B0: D3F3000C 1C3279AC
	v_mfma_f32_16x16x32_fp8_fp8 v[12:15], a[174:175], a[62:63], v[12:15]// 0000000115B8: D3F3000C 1C327DAE
	v_fma_f32 v192, v8, v6, v192                               // 0000000115C0: D1CB00C0 07020D08
	v_fma_f32 v193, v9, v6, v193                               // 0000000115C8: D1CB00C1 07060D09
	v_fma_f32 v194, v10, v6, v194                              // 0000000115D0: D1CB00C2 070A0D0A
	v_fma_f32 v195, v11, v6, v195                              // 0000000115D8: D1CB00C3 070E0D0B
	v_mul_f32_dpp v4, v29, v48 row_newbcast:0 row_mask:0xf bank_mask:0xf// 0000000115E0: 0A0860FA FF01501D
	v_mfma_f32_16x16x32_fp8_fp8 v[8:11], a[144:145], a[64:65], 0// 0000000115E8: D3F30008 1A028190
	v_mfma_f32_16x16x32_fp8_fp8 v[8:11], a[146:147], a[66:67], v[8:11]// 0000000115F0: D3F30008 1C228592
	v_mfma_f32_16x16x32_fp8_fp8 v[8:11], a[148:149], a[68:69], v[8:11]// 0000000115F8: D3F30008 1C228994
	v_mfma_f32_16x16x32_fp8_fp8 v[8:11], a[150:151], a[70:71], v[8:11]// 000000011600: D3F30008 1C228D96
	v_fma_f32 v212, v12, v6, v212                              // 000000011608: D1CB00D4 07520D0C
	v_fma_f32 v213, v13, v6, v213                              // 000000011610: D1CB00D5 07560D0D
	v_fma_f32 v214, v14, v6, v214                              // 000000011618: D1CB00D6 075A0D0E
	v_fma_f32 v215, v15, v6, v215                              // 000000011620: D1CB00D7 075E0D0F
	v_mfma_f32_16x16x32_fp8_fp8 v[12:15], a[152:153], a[64:65], 0// 000000011628: D3F3000C 1A028198
	v_mfma_f32_16x16x32_fp8_fp8 v[12:15], a[154:155], a[66:67], v[12:15]// 000000011630: D3F3000C 1C32859A
	v_mfma_f32_16x16x32_fp8_fp8 v[12:15], a[156:157], a[68:69], v[12:15]// 000000011638: D3F3000C 1C32899C
	v_mfma_f32_16x16x32_fp8_fp8 v[12:15], a[158:159], a[70:71], v[12:15]// 000000011640: D3F3000C 1C328D9E
	v_fma_f32 v156, v8, v4, v156                               // 000000011648: D1CB009C 06720908
	v_fma_f32 v157, v9, v4, v157                               // 000000011650: D1CB009D 06760909
	v_fma_f32 v158, v10, v4, v158                              // 000000011658: D1CB009E 067A090A
	v_fma_f32 v159, v11, v4, v159                              // 000000011660: D1CB009F 067E090B
	v_mul_f32_dpp v6, v29, v48 row_newbcast:1 row_mask:0xf bank_mask:0xf// 000000011668: 0A0C60FA FF01511D
	v_mfma_f32_16x16x32_fp8_fp8 v[8:11], a[160:161], a[64:65], 0// 000000011670: D3F30008 1A0281A0
	v_mfma_f32_16x16x32_fp8_fp8 v[8:11], a[162:163], a[66:67], v[8:11]// 000000011678: D3F30008 1C2285A2
	v_mfma_f32_16x16x32_fp8_fp8 v[8:11], a[164:165], a[68:69], v[8:11]// 000000011680: D3F30008 1C2289A4
	v_mfma_f32_16x16x32_fp8_fp8 v[8:11], a[166:167], a[70:71], v[8:11]// 000000011688: D3F30008 1C228DA6
	v_fma_f32 v176, v12, v4, v176                              // 000000011690: D1CB00B0 06C2090C
	v_fma_f32 v177, v13, v4, v177                              // 000000011698: D1CB00B1 06C6090D
	v_fma_f32 v178, v14, v4, v178                              // 0000000116A0: D1CB00B2 06CA090E
	v_fma_f32 v179, v15, v4, v179                              // 0000000116A8: D1CB00B3 06CE090F
	v_mfma_f32_16x16x32_fp8_fp8 v[12:15], a[168:169], a[64:65], 0// 0000000116B0: D3F3000C 1A0281A8
	v_mfma_f32_16x16x32_fp8_fp8 v[12:15], a[170:171], a[66:67], v[12:15]// 0000000116B8: D3F3000C 1C3285AA
	v_mfma_f32_16x16x32_fp8_fp8 v[12:15], a[172:173], a[68:69], v[12:15]// 0000000116C0: D3F3000C 1C3289AC
	v_mfma_f32_16x16x32_fp8_fp8 v[12:15], a[174:175], a[70:71], v[12:15]// 0000000116C8: D3F3000C 1C328DAE
	v_fma_f32 v196, v8, v6, v196                               // 0000000116D0: D1CB00C4 07120D08
	v_fma_f32 v197, v9, v6, v197                               // 0000000116D8: D1CB00C5 07160D09
	v_fma_f32 v198, v10, v6, v198                              // 0000000116E0: D1CB00C6 071A0D0A
	v_fma_f32 v199, v11, v6, v199                              // 0000000116E8: D1CB00C7 071E0D0B
	v_mul_f32_dpp v4, v29, v49 row_newbcast:0 row_mask:0xf bank_mask:0xf// 0000000116F0: 0A0862FA FF01501D
	v_mfma_f32_16x16x32_fp8_fp8 v[8:11], a[144:145], a[72:73], 0// 0000000116F8: D3F30008 1A029190
	v_mfma_f32_16x16x32_fp8_fp8 v[8:11], a[146:147], a[74:75], v[8:11]// 000000011700: D3F30008 1C229592
	v_mfma_f32_16x16x32_fp8_fp8 v[8:11], a[148:149], a[76:77], v[8:11]// 000000011708: D3F30008 1C229994
	v_mfma_f32_16x16x32_fp8_fp8 v[8:11], a[150:151], a[78:79], v[8:11]// 000000011710: D3F30008 1C229D96
	v_fma_f32 v216, v12, v6, v216                              // 000000011718: D1CB00D8 07620D0C
	v_fma_f32 v217, v13, v6, v217                              // 000000011720: D1CB00D9 07660D0D
	v_fma_f32 v218, v14, v6, v218                              // 000000011728: D1CB00DA 076A0D0E
	v_fma_f32 v219, v15, v6, v219                              // 000000011730: D1CB00DB 076E0D0F
	v_mfma_f32_16x16x32_fp8_fp8 v[12:15], a[152:153], a[72:73], 0// 000000011738: D3F3000C 1A029198
	v_mfma_f32_16x16x32_fp8_fp8 v[12:15], a[154:155], a[74:75], v[12:15]// 000000011740: D3F3000C 1C32959A
	v_mfma_f32_16x16x32_fp8_fp8 v[12:15], a[156:157], a[76:77], v[12:15]// 000000011748: D3F3000C 1C32999C
	v_mfma_f32_16x16x32_fp8_fp8 v[12:15], a[158:159], a[78:79], v[12:15]// 000000011750: D3F3000C 1C329D9E
	v_fma_f32 v160, v8, v4, v160                               // 000000011758: D1CB00A0 06820908
	v_fma_f32 v161, v9, v4, v161                               // 000000011760: D1CB00A1 06860909
	v_fma_f32 v162, v10, v4, v162                              // 000000011768: D1CB00A2 068A090A
	v_fma_f32 v163, v11, v4, v163                              // 000000011770: D1CB00A3 068E090B
	v_mul_f32_dpp v6, v29, v49 row_newbcast:1 row_mask:0xf bank_mask:0xf// 000000011778: 0A0C62FA FF01511D
	v_mfma_f32_16x16x32_fp8_fp8 v[8:11], a[160:161], a[72:73], 0// 000000011780: D3F30008 1A0291A0
	s_add_u32 s60, 0x180, s80                                  // 000000011788: 803C50FF 00000180
	s_cmp_lt_u32 s60, s81                                      // 000000011790: BF0A513C
	s_cselect_b32 s57, s57, 0                                  // 000000011794: 85398039
	s_cselect_b32 s3, s3, 0                                    // 000000011798: 85038003
	v_mfma_f32_16x16x32_fp8_fp8 v[8:11], a[162:163], a[74:75], v[8:11]// 00000001179C: D3F30008 1C2295A2
	s_add_u32 s60, 0x100, s80                                  // 0000000117A4: 803C50FF 00000100
	s_cmp_lt_u32 s60, s81                                      // 0000000117AC: BF0A513C
	s_cselect_b32 s58, s58, 0                                  // 0000000117B0: 853A803A
	v_mfma_f32_16x16x32_fp8_fp8 v[8:11], a[164:165], a[76:77], v[8:11]// 0000000117B4: D3F30008 1C2299A4
	s_add_u32 s60, 0x100, s80                                  // 0000000117BC: 803C50FF 00000100
	s_cmp_lt_u32 s60, s81                                      // 0000000117C4: BF0A513C
	s_cselect_b32 s83, s83, 0                                  // 0000000117C8: 85538053
	s_cselect_b32 s4, s4, 0                                    // 0000000117CC: 85048004
	v_mfma_f32_16x16x32_fp8_fp8 v[8:11], a[166:167], a[78:79], v[8:11]// 0000000117D0: D3F30008 1C229DA6
	s_add_u32 s24, s58, s24                                    // 0000000117D8: 8018183A
	s_addc_u32 s25, 0, s25                                     // 0000000117DC: 82191980
	v_fma_f32 v180, v12, v4, v180                              // 0000000117E0: D1CB00B4 06D2090C
	v_fma_f32 v181, v13, v4, v181                              // 0000000117E8: D1CB00B5 06D6090D
	v_fma_f32 v182, v14, v4, v182                              // 0000000117F0: D1CB00B6 06DA090E
	v_fma_f32 v183, v15, v4, v183                              // 0000000117F8: D1CB00B7 06DE090F
	v_mfma_f32_16x16x32_fp8_fp8 v[12:15], a[168:169], a[72:73], 0// 000000011800: D3F3000C 1A0291A8
	s_add_u32 s20, s57, s20                                    // 000000011808: 80141439
	s_addc_u32 s21, 0, s21                                     // 00000001180C: 82151580
	s_add_u32 s28, s3, s28                                     // 000000011810: 801C1C03
	s_addc_u32 s29, 0, s29                                     // 000000011814: 821D1D80
	v_mfma_f32_16x16x32_fp8_fp8 v[12:15], a[170:171], a[74:75], v[12:15]// 000000011818: D3F3000C 1C3295AA
	s_add_u32 s84, s83, s84                                    // 000000011820: 80545453
	s_addc_u32 s85, 0, s85                                     // 000000011824: 82555580
	v_mfma_f32_16x16x32_fp8_fp8 v[12:15], a[172:173], a[76:77], v[12:15]// 000000011828: D3F3000C 1C3299AC
	s_add_u32 s32, s4, s32                                     // 000000011830: 80202004
	s_addc_u32 s33, 0, s33                                     // 000000011834: 82212180
	v_mfma_f32_16x16x32_fp8_fp8 v[12:15], a[174:175], a[78:79], v[12:15]// 000000011838: D3F3000C 1C329DAE
	v_fma_f32 v200, v8, v6, v200                               // 000000011840: D1CB00C8 07220D08
	v_fma_f32 v201, v9, v6, v201                               // 000000011848: D1CB00C9 07260D09
	v_fma_f32 v202, v10, v6, v202                              // 000000011850: D1CB00CA 072A0D0A
	v_fma_f32 v203, v11, v6, v203                              // 000000011858: D1CB00CB 072E0D0B
	v_fma_f32 v220, v12, v6, v220                              // 000000011860: D1CB00DC 07720D0C
	v_fma_f32 v221, v13, v6, v221                              // 000000011868: D1CB00DD 07760D0D
	v_fma_f32 v222, v14, v6, v222                              // 000000011870: D1CB00DE 077A0D0E
	v_fma_f32 v223, v15, v6, v223                              // 000000011878: D1CB00DF 077E0D0F
	s_addk_i32 s80, 0x80                                       // 000000011880: B7500080
	s_cmp_lt_i32 s80, s81                                      // 000000011884: BF045150
	s_cbranch_scc0 label_3BA7                                  // 000000011888: BF840001
	s_branch label_288C                                        // 00000001188C: BF82ECE5

0000000000011890 <label_3BA7>:
	s_cmp_eq_u32 s88, 0                                        // 000000011890: BF068058
	s_cbranch_scc0 label_473E                                  // 000000011894: BF840B95
	s_cmp_eq_u32 s89, 0                                        // 000000011898: BF068059
	s_cbranch_scc1 label_3ED0                                  // 00000001189C: BF850325
	v_mov_b32_e32 v8, v1                                       // 0000000118A0: 7E100301
	v_mov_b32_e32 v9, v1                                       // 0000000118A4: 7E120301
	s_mov_b32 s60, s6                                          // 0000000118A8: BEBC0006
	s_mov_b32 s61, s6                                          // 0000000118AC: BEBD0006
	v_pk_mul_f32 v[4:5], v[64:65], v[64:65]                    // 0000000118B0: D3B14004 18028140
	v_pk_mul_f32 v[6:7], v[66:67], v[66:67]                    // 0000000118B8: D3B14006 18028542
	v_pk_fma_f32 v[4:5], v[4:5], s[78:79], v[8:9]              // 0000000118C0: D3B04004 1C209D04
	v_pk_fma_f32 v[6:7], v[6:7], s[78:79], v[8:9]              // 0000000118C8: D3B04006 1C209D06
	v_pk_mul_f32 v[4:5], v[4:5], v[64:65]                      // 0000000118D0: D3B14004 18028104
	v_pk_mul_f32 v[6:7], v[6:7], v[66:67]                      // 0000000118D8: D3B14006 18028506
	v_pk_mul_f32 v[4:5], v[4:5], s[60:61]                      // 0000000118E0: D3B14004 18007904
	v_pk_mul_f32 v[6:7], v[6:7], s[60:61]                      // 0000000118E8: D3B14006 18007906
	v_exp_f32_e32 v4, v4                                       // 0000000118F0: 7E084104
	v_exp_f32_e32 v5, v5                                       // 0000000118F4: 7E0A4105
	v_exp_f32_e32 v6, v6                                       // 0000000118F8: 7E0C4106
	v_exp_f32_e32 v7, v7                                       // 0000000118FC: 7E0E4107
	v_add_f32_e64 v4, v4, 1.0                                  // 000000011900: D1010004 0001E504
	v_add_f32_e64 v5, v5, 1.0                                  // 000000011908: D1010005 0001E505
	v_add_f32_e64 v6, v6, 1.0                                  // 000000011910: D1010006 0001E506
	v_add_f32_e64 v7, v7, 1.0                                  // 000000011918: D1010007 0001E507
	v_rcp_f32_e32 v4, v4                                       // 000000011920: 7E084504
	v_rcp_f32_e32 v5, v5                                       // 000000011924: 7E0A4505
	v_rcp_f32_e32 v6, v6                                       // 000000011928: 7E0C4506
	v_rcp_f32_e32 v7, v7                                       // 00000001192C: 7E0E4507
	v_mul_f32_e32 v64, v64, v4                                 // 000000011930: 0A800940
	v_mul_f32_e32 v65, v65, v5                                 // 000000011934: 0A820B41
	v_mul_f32_e32 v66, v66, v6                                 // 000000011938: 0A840D42
	v_mul_f32_e32 v67, v67, v7                                 // 00000001193C: 0A860F43
	v_mul_f32_e32 v64, v64, v144                               // 000000011940: 0A812140
	v_mul_f32_e32 v65, v65, v145                               // 000000011944: 0A832341
	v_mul_f32_e32 v66, v66, v146                               // 000000011948: 0A852542
	v_mul_f32_e32 v67, v67, v147                               // 00000001194C: 0A872743
	v_pk_mul_f32 v[4:5], v[68:69], v[68:69]                    // 000000011950: D3B14004 18028944
	v_pk_mul_f32 v[6:7], v[70:71], v[70:71]                    // 000000011958: D3B14006 18028D46
	v_pk_fma_f32 v[4:5], v[4:5], s[78:79], v[8:9]              // 000000011960: D3B04004 1C209D04
	v_pk_fma_f32 v[6:7], v[6:7], s[78:79], v[8:9]              // 000000011968: D3B04006 1C209D06
	v_pk_mul_f32 v[4:5], v[4:5], v[68:69]                      // 000000011970: D3B14004 18028904
	v_pk_mul_f32 v[6:7], v[6:7], v[70:71]                      // 000000011978: D3B14006 18028D06
	v_pk_mul_f32 v[4:5], v[4:5], s[60:61]                      // 000000011980: D3B14004 18007904
	v_pk_mul_f32 v[6:7], v[6:7], s[60:61]                      // 000000011988: D3B14006 18007906
	v_exp_f32_e32 v4, v4                                       // 000000011990: 7E084104
	v_exp_f32_e32 v5, v5                                       // 000000011994: 7E0A4105
	v_exp_f32_e32 v6, v6                                       // 000000011998: 7E0C4106
	v_exp_f32_e32 v7, v7                                       // 00000001199C: 7E0E4107
	v_add_f32_e64 v4, v4, 1.0                                  // 0000000119A0: D1010004 0001E504
	v_add_f32_e64 v5, v5, 1.0                                  // 0000000119A8: D1010005 0001E505
	v_add_f32_e64 v6, v6, 1.0                                  // 0000000119B0: D1010006 0001E506
	v_add_f32_e64 v7, v7, 1.0                                  // 0000000119B8: D1010007 0001E507
	v_rcp_f32_e32 v4, v4                                       // 0000000119C0: 7E084504
	v_rcp_f32_e32 v5, v5                                       // 0000000119C4: 7E0A4505
	v_rcp_f32_e32 v6, v6                                       // 0000000119C8: 7E0C4506
	v_rcp_f32_e32 v7, v7                                       // 0000000119CC: 7E0E4507
	v_mul_f32_e32 v68, v68, v4                                 // 0000000119D0: 0A880944
	v_mul_f32_e32 v69, v69, v5                                 // 0000000119D4: 0A8A0B45
	v_mul_f32_e32 v70, v70, v6                                 // 0000000119D8: 0A8C0D46
	v_mul_f32_e32 v71, v71, v7                                 // 0000000119DC: 0A8E0F47
	v_mul_f32_e32 v68, v68, v148                               // 0000000119E0: 0A892944
	v_mul_f32_e32 v69, v69, v149                               // 0000000119E4: 0A8B2B45
	v_mul_f32_e32 v70, v70, v150                               // 0000000119E8: 0A8D2D46
	v_mul_f32_e32 v71, v71, v151                               // 0000000119EC: 0A8F2F47
	v_pk_mul_f32 v[4:5], v[72:73], v[72:73]                    // 0000000119F0: D3B14004 18029148
	v_pk_mul_f32 v[6:7], v[74:75], v[74:75]                    // 0000000119F8: D3B14006 1802954A
	v_pk_fma_f32 v[4:5], v[4:5], s[78:79], v[8:9]              // 000000011A00: D3B04004 1C209D04
	v_pk_fma_f32 v[6:7], v[6:7], s[78:79], v[8:9]              // 000000011A08: D3B04006 1C209D06
	v_pk_mul_f32 v[4:5], v[4:5], v[72:73]                      // 000000011A10: D3B14004 18029104
	v_pk_mul_f32 v[6:7], v[6:7], v[74:75]                      // 000000011A18: D3B14006 18029506
	v_pk_mul_f32 v[4:5], v[4:5], s[60:61]                      // 000000011A20: D3B14004 18007904
	v_pk_mul_f32 v[6:7], v[6:7], s[60:61]                      // 000000011A28: D3B14006 18007906
	v_exp_f32_e32 v4, v4                                       // 000000011A30: 7E084104
	v_exp_f32_e32 v5, v5                                       // 000000011A34: 7E0A4105
	v_exp_f32_e32 v6, v6                                       // 000000011A38: 7E0C4106
	v_exp_f32_e32 v7, v7                                       // 000000011A3C: 7E0E4107
	v_add_f32_e64 v4, v4, 1.0                                  // 000000011A40: D1010004 0001E504
	v_add_f32_e64 v5, v5, 1.0                                  // 000000011A48: D1010005 0001E505
	v_add_f32_e64 v6, v6, 1.0                                  // 000000011A50: D1010006 0001E506
	v_add_f32_e64 v7, v7, 1.0                                  // 000000011A58: D1010007 0001E507
	v_rcp_f32_e32 v4, v4                                       // 000000011A60: 7E084504
	v_rcp_f32_e32 v5, v5                                       // 000000011A64: 7E0A4505
	v_rcp_f32_e32 v6, v6                                       // 000000011A68: 7E0C4506
	v_rcp_f32_e32 v7, v7                                       // 000000011A6C: 7E0E4507
	v_mul_f32_e32 v72, v72, v4                                 // 000000011A70: 0A900948
	v_mul_f32_e32 v73, v73, v5                                 // 000000011A74: 0A920B49
	v_mul_f32_e32 v74, v74, v6                                 // 000000011A78: 0A940D4A
	v_mul_f32_e32 v75, v75, v7                                 // 000000011A7C: 0A960F4B
	v_mul_f32_e32 v72, v72, v152                               // 000000011A80: 0A913148
	v_mul_f32_e32 v73, v73, v153                               // 000000011A84: 0A933349
	v_mul_f32_e32 v74, v74, v154                               // 000000011A88: 0A95354A
	v_mul_f32_e32 v75, v75, v155                               // 000000011A8C: 0A97374B
	v_pk_mul_f32 v[4:5], v[76:77], v[76:77]                    // 000000011A90: D3B14004 1802994C
	v_pk_mul_f32 v[6:7], v[78:79], v[78:79]                    // 000000011A98: D3B14006 18029D4E
	v_pk_fma_f32 v[4:5], v[4:5], s[78:79], v[8:9]              // 000000011AA0: D3B04004 1C209D04
	v_pk_fma_f32 v[6:7], v[6:7], s[78:79], v[8:9]              // 000000011AA8: D3B04006 1C209D06
	v_pk_mul_f32 v[4:5], v[4:5], v[76:77]                      // 000000011AB0: D3B14004 18029904
	v_pk_mul_f32 v[6:7], v[6:7], v[78:79]                      // 000000011AB8: D3B14006 18029D06
	v_pk_mul_f32 v[4:5], v[4:5], s[60:61]                      // 000000011AC0: D3B14004 18007904
	v_pk_mul_f32 v[6:7], v[6:7], s[60:61]                      // 000000011AC8: D3B14006 18007906
	v_exp_f32_e32 v4, v4                                       // 000000011AD0: 7E084104
	v_exp_f32_e32 v5, v5                                       // 000000011AD4: 7E0A4105
	v_exp_f32_e32 v6, v6                                       // 000000011AD8: 7E0C4106
	v_exp_f32_e32 v7, v7                                       // 000000011ADC: 7E0E4107
	v_add_f32_e64 v4, v4, 1.0                                  // 000000011AE0: D1010004 0001E504
	v_add_f32_e64 v5, v5, 1.0                                  // 000000011AE8: D1010005 0001E505
	v_add_f32_e64 v6, v6, 1.0                                  // 000000011AF0: D1010006 0001E506
	v_add_f32_e64 v7, v7, 1.0                                  // 000000011AF8: D1010007 0001E507
	v_rcp_f32_e32 v4, v4                                       // 000000011B00: 7E084504
	v_rcp_f32_e32 v5, v5                                       // 000000011B04: 7E0A4505
	v_rcp_f32_e32 v6, v6                                       // 000000011B08: 7E0C4506
	v_rcp_f32_e32 v7, v7                                       // 000000011B0C: 7E0E4507
	v_mul_f32_e32 v76, v76, v4                                 // 000000011B10: 0A98094C
	v_mul_f32_e32 v77, v77, v5                                 // 000000011B14: 0A9A0B4D
	v_mul_f32_e32 v78, v78, v6                                 // 000000011B18: 0A9C0D4E
	v_mul_f32_e32 v79, v79, v7                                 // 000000011B1C: 0A9E0F4F
	v_mul_f32_e32 v76, v76, v156                               // 000000011B20: 0A99394C
	v_mul_f32_e32 v77, v77, v157                               // 000000011B24: 0A9B3B4D
	v_mul_f32_e32 v78, v78, v158                               // 000000011B28: 0A9D3D4E
	v_mul_f32_e32 v79, v79, v159                               // 000000011B2C: 0A9F3F4F
	v_pk_mul_f32 v[4:5], v[80:81], v[80:81]                    // 000000011B30: D3B14004 1802A150
	v_pk_mul_f32 v[6:7], v[82:83], v[82:83]                    // 000000011B38: D3B14006 1802A552
	v_pk_fma_f32 v[4:5], v[4:5], s[78:79], v[8:9]              // 000000011B40: D3B04004 1C209D04
	v_pk_fma_f32 v[6:7], v[6:7], s[78:79], v[8:9]              // 000000011B48: D3B04006 1C209D06
	v_pk_mul_f32 v[4:5], v[4:5], v[80:81]                      // 000000011B50: D3B14004 1802A104
	v_pk_mul_f32 v[6:7], v[6:7], v[82:83]                      // 000000011B58: D3B14006 1802A506
	v_pk_mul_f32 v[4:5], v[4:5], s[60:61]                      // 000000011B60: D3B14004 18007904
	v_pk_mul_f32 v[6:7], v[6:7], s[60:61]                      // 000000011B68: D3B14006 18007906
	v_exp_f32_e32 v4, v4                                       // 000000011B70: 7E084104
	v_exp_f32_e32 v5, v5                                       // 000000011B74: 7E0A4105
	v_exp_f32_e32 v6, v6                                       // 000000011B78: 7E0C4106
	v_exp_f32_e32 v7, v7                                       // 000000011B7C: 7E0E4107
	v_add_f32_e64 v4, v4, 1.0                                  // 000000011B80: D1010004 0001E504
	v_add_f32_e64 v5, v5, 1.0                                  // 000000011B88: D1010005 0001E505
	v_add_f32_e64 v6, v6, 1.0                                  // 000000011B90: D1010006 0001E506
	v_add_f32_e64 v7, v7, 1.0                                  // 000000011B98: D1010007 0001E507
	v_rcp_f32_e32 v4, v4                                       // 000000011BA0: 7E084504
	v_rcp_f32_e32 v5, v5                                       // 000000011BA4: 7E0A4505
	v_rcp_f32_e32 v6, v6                                       // 000000011BA8: 7E0C4506
	v_rcp_f32_e32 v7, v7                                       // 000000011BAC: 7E0E4507
	v_mul_f32_e32 v80, v80, v4                                 // 000000011BB0: 0AA00950
	v_mul_f32_e32 v81, v81, v5                                 // 000000011BB4: 0AA20B51
	v_mul_f32_e32 v82, v82, v6                                 // 000000011BB8: 0AA40D52
	v_mul_f32_e32 v83, v83, v7                                 // 000000011BBC: 0AA60F53
	v_mul_f32_e32 v80, v80, v160                               // 000000011BC0: 0AA14150
	v_mul_f32_e32 v81, v81, v161                               // 000000011BC4: 0AA34351
	v_mul_f32_e32 v82, v82, v162                               // 000000011BC8: 0AA54552
	v_mul_f32_e32 v83, v83, v163                               // 000000011BCC: 0AA74753
	v_pk_mul_f32 v[4:5], v[84:85], v[84:85]                    // 000000011BD0: D3B14004 1802A954
	v_pk_mul_f32 v[6:7], v[86:87], v[86:87]                    // 000000011BD8: D3B14006 1802AD56
	v_pk_fma_f32 v[4:5], v[4:5], s[78:79], v[8:9]              // 000000011BE0: D3B04004 1C209D04
	v_pk_fma_f32 v[6:7], v[6:7], s[78:79], v[8:9]              // 000000011BE8: D3B04006 1C209D06
	v_pk_mul_f32 v[4:5], v[4:5], v[84:85]                      // 000000011BF0: D3B14004 1802A904
	v_pk_mul_f32 v[6:7], v[6:7], v[86:87]                      // 000000011BF8: D3B14006 1802AD06
	v_pk_mul_f32 v[4:5], v[4:5], s[60:61]                      // 000000011C00: D3B14004 18007904
	v_pk_mul_f32 v[6:7], v[6:7], s[60:61]                      // 000000011C08: D3B14006 18007906
	v_exp_f32_e32 v4, v4                                       // 000000011C10: 7E084104
	v_exp_f32_e32 v5, v5                                       // 000000011C14: 7E0A4105
	v_exp_f32_e32 v6, v6                                       // 000000011C18: 7E0C4106
	v_exp_f32_e32 v7, v7                                       // 000000011C1C: 7E0E4107
	v_add_f32_e64 v4, v4, 1.0                                  // 000000011C20: D1010004 0001E504
	v_add_f32_e64 v5, v5, 1.0                                  // 000000011C28: D1010005 0001E505
	v_add_f32_e64 v6, v6, 1.0                                  // 000000011C30: D1010006 0001E506
	v_add_f32_e64 v7, v7, 1.0                                  // 000000011C38: D1010007 0001E507
	v_rcp_f32_e32 v4, v4                                       // 000000011C40: 7E084504
	v_rcp_f32_e32 v5, v5                                       // 000000011C44: 7E0A4505
	v_rcp_f32_e32 v6, v6                                       // 000000011C48: 7E0C4506
	v_rcp_f32_e32 v7, v7                                       // 000000011C4C: 7E0E4507
	v_mul_f32_e32 v84, v84, v4                                 // 000000011C50: 0AA80954
	v_mul_f32_e32 v85, v85, v5                                 // 000000011C54: 0AAA0B55
	v_mul_f32_e32 v86, v86, v6                                 // 000000011C58: 0AAC0D56
	v_mul_f32_e32 v87, v87, v7                                 // 000000011C5C: 0AAE0F57
	v_mul_f32_e32 v84, v84, v164                               // 000000011C60: 0AA94954
	v_mul_f32_e32 v85, v85, v165                               // 000000011C64: 0AAB4B55
	v_mul_f32_e32 v86, v86, v166                               // 000000011C68: 0AAD4D56
	v_mul_f32_e32 v87, v87, v167                               // 000000011C6C: 0AAF4F57
	v_pk_mul_f32 v[4:5], v[88:89], v[88:89]                    // 000000011C70: D3B14004 1802B158
	v_pk_mul_f32 v[6:7], v[90:91], v[90:91]                    // 000000011C78: D3B14006 1802B55A
	v_pk_fma_f32 v[4:5], v[4:5], s[78:79], v[8:9]              // 000000011C80: D3B04004 1C209D04
	v_pk_fma_f32 v[6:7], v[6:7], s[78:79], v[8:9]              // 000000011C88: D3B04006 1C209D06
	v_pk_mul_f32 v[4:5], v[4:5], v[88:89]                      // 000000011C90: D3B14004 1802B104
	v_pk_mul_f32 v[6:7], v[6:7], v[90:91]                      // 000000011C98: D3B14006 1802B506
	v_pk_mul_f32 v[4:5], v[4:5], s[60:61]                      // 000000011CA0: D3B14004 18007904
	v_pk_mul_f32 v[6:7], v[6:7], s[60:61]                      // 000000011CA8: D3B14006 18007906
	v_exp_f32_e32 v4, v4                                       // 000000011CB0: 7E084104
	v_exp_f32_e32 v5, v5                                       // 000000011CB4: 7E0A4105
	v_exp_f32_e32 v6, v6                                       // 000000011CB8: 7E0C4106
	v_exp_f32_e32 v7, v7                                       // 000000011CBC: 7E0E4107
	v_add_f32_e64 v4, v4, 1.0                                  // 000000011CC0: D1010004 0001E504
	v_add_f32_e64 v5, v5, 1.0                                  // 000000011CC8: D1010005 0001E505
	v_add_f32_e64 v6, v6, 1.0                                  // 000000011CD0: D1010006 0001E506
	v_add_f32_e64 v7, v7, 1.0                                  // 000000011CD8: D1010007 0001E507
	v_rcp_f32_e32 v4, v4                                       // 000000011CE0: 7E084504
	v_rcp_f32_e32 v5, v5                                       // 000000011CE4: 7E0A4505
	v_rcp_f32_e32 v6, v6                                       // 000000011CE8: 7E0C4506
	v_rcp_f32_e32 v7, v7                                       // 000000011CEC: 7E0E4507
	v_mul_f32_e32 v88, v88, v4                                 // 000000011CF0: 0AB00958
	v_mul_f32_e32 v89, v89, v5                                 // 000000011CF4: 0AB20B59
	v_mul_f32_e32 v90, v90, v6                                 // 000000011CF8: 0AB40D5A
	v_mul_f32_e32 v91, v91, v7                                 // 000000011CFC: 0AB60F5B
	v_mul_f32_e32 v88, v88, v168                               // 000000011D00: 0AB15158
	v_mul_f32_e32 v89, v89, v169                               // 000000011D04: 0AB35359
	v_mul_f32_e32 v90, v90, v170                               // 000000011D08: 0AB5555A
	v_mul_f32_e32 v91, v91, v171                               // 000000011D0C: 0AB7575B
	v_pk_mul_f32 v[4:5], v[92:93], v[92:93]                    // 000000011D10: D3B14004 1802B95C
	v_pk_mul_f32 v[6:7], v[94:95], v[94:95]                    // 000000011D18: D3B14006 1802BD5E
	v_pk_fma_f32 v[4:5], v[4:5], s[78:79], v[8:9]              // 000000011D20: D3B04004 1C209D04
	v_pk_fma_f32 v[6:7], v[6:7], s[78:79], v[8:9]              // 000000011D28: D3B04006 1C209D06
	v_pk_mul_f32 v[4:5], v[4:5], v[92:93]                      // 000000011D30: D3B14004 1802B904
	v_pk_mul_f32 v[6:7], v[6:7], v[94:95]                      // 000000011D38: D3B14006 1802BD06
	v_pk_mul_f32 v[4:5], v[4:5], s[60:61]                      // 000000011D40: D3B14004 18007904
	v_pk_mul_f32 v[6:7], v[6:7], s[60:61]                      // 000000011D48: D3B14006 18007906
	v_exp_f32_e32 v4, v4                                       // 000000011D50: 7E084104
	v_exp_f32_e32 v5, v5                                       // 000000011D54: 7E0A4105
	v_exp_f32_e32 v6, v6                                       // 000000011D58: 7E0C4106
	v_exp_f32_e32 v7, v7                                       // 000000011D5C: 7E0E4107
	v_add_f32_e64 v4, v4, 1.0                                  // 000000011D60: D1010004 0001E504
	v_add_f32_e64 v5, v5, 1.0                                  // 000000011D68: D1010005 0001E505
	v_add_f32_e64 v6, v6, 1.0                                  // 000000011D70: D1010006 0001E506
	v_add_f32_e64 v7, v7, 1.0                                  // 000000011D78: D1010007 0001E507
	v_rcp_f32_e32 v4, v4                                       // 000000011D80: 7E084504
	v_rcp_f32_e32 v5, v5                                       // 000000011D84: 7E0A4505
	v_rcp_f32_e32 v6, v6                                       // 000000011D88: 7E0C4506
	v_rcp_f32_e32 v7, v7                                       // 000000011D8C: 7E0E4507
	v_mul_f32_e32 v92, v92, v4                                 // 000000011D90: 0AB8095C
	v_mul_f32_e32 v93, v93, v5                                 // 000000011D94: 0ABA0B5D
	v_mul_f32_e32 v94, v94, v6                                 // 000000011D98: 0ABC0D5E
	v_mul_f32_e32 v95, v95, v7                                 // 000000011D9C: 0ABE0F5F
	v_mul_f32_e32 v92, v92, v172                               // 000000011DA0: 0AB9595C
	v_mul_f32_e32 v93, v93, v173                               // 000000011DA4: 0ABB5B5D
	v_mul_f32_e32 v94, v94, v174                               // 000000011DA8: 0ABD5D5E
	v_mul_f32_e32 v95, v95, v175                               // 000000011DAC: 0ABF5F5F
	v_pk_mul_f32 v[4:5], v[96:97], v[96:97]                    // 000000011DB0: D3B14004 1802C160
	v_pk_mul_f32 v[6:7], v[98:99], v[98:99]                    // 000000011DB8: D3B14006 1802C562
	v_pk_fma_f32 v[4:5], v[4:5], s[78:79], v[8:9]              // 000000011DC0: D3B04004 1C209D04
	v_pk_fma_f32 v[6:7], v[6:7], s[78:79], v[8:9]              // 000000011DC8: D3B04006 1C209D06
	v_pk_mul_f32 v[4:5], v[4:5], v[96:97]                      // 000000011DD0: D3B14004 1802C104
	v_pk_mul_f32 v[6:7], v[6:7], v[98:99]                      // 000000011DD8: D3B14006 1802C506
	v_pk_mul_f32 v[4:5], v[4:5], s[60:61]                      // 000000011DE0: D3B14004 18007904
	v_pk_mul_f32 v[6:7], v[6:7], s[60:61]                      // 000000011DE8: D3B14006 18007906
	v_exp_f32_e32 v4, v4                                       // 000000011DF0: 7E084104
	v_exp_f32_e32 v5, v5                                       // 000000011DF4: 7E0A4105
	v_exp_f32_e32 v6, v6                                       // 000000011DF8: 7E0C4106
	v_exp_f32_e32 v7, v7                                       // 000000011DFC: 7E0E4107
	v_add_f32_e64 v4, v4, 1.0                                  // 000000011E00: D1010004 0001E504
	v_add_f32_e64 v5, v5, 1.0                                  // 000000011E08: D1010005 0001E505
	v_add_f32_e64 v6, v6, 1.0                                  // 000000011E10: D1010006 0001E506
	v_add_f32_e64 v7, v7, 1.0                                  // 000000011E18: D1010007 0001E507
	v_rcp_f32_e32 v4, v4                                       // 000000011E20: 7E084504
	v_rcp_f32_e32 v5, v5                                       // 000000011E24: 7E0A4505
	v_rcp_f32_e32 v6, v6                                       // 000000011E28: 7E0C4506
	v_rcp_f32_e32 v7, v7                                       // 000000011E2C: 7E0E4507
	v_mul_f32_e32 v96, v96, v4                                 // 000000011E30: 0AC00960
	v_mul_f32_e32 v97, v97, v5                                 // 000000011E34: 0AC20B61
	v_mul_f32_e32 v98, v98, v6                                 // 000000011E38: 0AC40D62
	v_mul_f32_e32 v99, v99, v7                                 // 000000011E3C: 0AC60F63
	v_mul_f32_e32 v96, v96, v176                               // 000000011E40: 0AC16160
	v_mul_f32_e32 v97, v97, v177                               // 000000011E44: 0AC36361
	v_mul_f32_e32 v98, v98, v178                               // 000000011E48: 0AC56562
	v_mul_f32_e32 v99, v99, v179                               // 000000011E4C: 0AC76763
	v_pk_mul_f32 v[4:5], v[100:101], v[100:101]                // 000000011E50: D3B14004 1802C964
	v_pk_mul_f32 v[6:7], v[102:103], v[102:103]                // 000000011E58: D3B14006 1802CD66
	v_pk_fma_f32 v[4:5], v[4:5], s[78:79], v[8:9]              // 000000011E60: D3B04004 1C209D04
	v_pk_fma_f32 v[6:7], v[6:7], s[78:79], v[8:9]              // 000000011E68: D3B04006 1C209D06
	v_pk_mul_f32 v[4:5], v[4:5], v[100:101]                    // 000000011E70: D3B14004 1802C904
	v_pk_mul_f32 v[6:7], v[6:7], v[102:103]                    // 000000011E78: D3B14006 1802CD06
	v_pk_mul_f32 v[4:5], v[4:5], s[60:61]                      // 000000011E80: D3B14004 18007904
	v_pk_mul_f32 v[6:7], v[6:7], s[60:61]                      // 000000011E88: D3B14006 18007906
	v_exp_f32_e32 v4, v4                                       // 000000011E90: 7E084104
	v_exp_f32_e32 v5, v5                                       // 000000011E94: 7E0A4105
	v_exp_f32_e32 v6, v6                                       // 000000011E98: 7E0C4106
	v_exp_f32_e32 v7, v7                                       // 000000011E9C: 7E0E4107
	v_add_f32_e64 v4, v4, 1.0                                  // 000000011EA0: D1010004 0001E504
	v_add_f32_e64 v5, v5, 1.0                                  // 000000011EA8: D1010005 0001E505
	v_add_f32_e64 v6, v6, 1.0                                  // 000000011EB0: D1010006 0001E506
	v_add_f32_e64 v7, v7, 1.0                                  // 000000011EB8: D1010007 0001E507
	v_rcp_f32_e32 v4, v4                                       // 000000011EC0: 7E084504
	v_rcp_f32_e32 v5, v5                                       // 000000011EC4: 7E0A4505
	v_rcp_f32_e32 v6, v6                                       // 000000011EC8: 7E0C4506
	v_rcp_f32_e32 v7, v7                                       // 000000011ECC: 7E0E4507
	v_mul_f32_e32 v100, v100, v4                               // 000000011ED0: 0AC80964
	v_mul_f32_e32 v101, v101, v5                               // 000000011ED4: 0ACA0B65
	v_mul_f32_e32 v102, v102, v6                               // 000000011ED8: 0ACC0D66
	v_mul_f32_e32 v103, v103, v7                               // 000000011EDC: 0ACE0F67
	v_mul_f32_e32 v100, v100, v180                             // 000000011EE0: 0AC96964
	v_mul_f32_e32 v101, v101, v181                             // 000000011EE4: 0ACB6B65
	v_mul_f32_e32 v102, v102, v182                             // 000000011EE8: 0ACD6D66
	v_mul_f32_e32 v103, v103, v183                             // 000000011EEC: 0ACF6F67
	v_pk_mul_f32 v[4:5], v[104:105], v[104:105]                // 000000011EF0: D3B14004 1802D168
	v_pk_mul_f32 v[6:7], v[106:107], v[106:107]                // 000000011EF8: D3B14006 1802D56A
	v_pk_fma_f32 v[4:5], v[4:5], s[78:79], v[8:9]              // 000000011F00: D3B04004 1C209D04
	v_pk_fma_f32 v[6:7], v[6:7], s[78:79], v[8:9]              // 000000011F08: D3B04006 1C209D06
	v_pk_mul_f32 v[4:5], v[4:5], v[104:105]                    // 000000011F10: D3B14004 1802D104
	v_pk_mul_f32 v[6:7], v[6:7], v[106:107]                    // 000000011F18: D3B14006 1802D506
	v_pk_mul_f32 v[4:5], v[4:5], s[60:61]                      // 000000011F20: D3B14004 18007904
	v_pk_mul_f32 v[6:7], v[6:7], s[60:61]                      // 000000011F28: D3B14006 18007906
	v_exp_f32_e32 v4, v4                                       // 000000011F30: 7E084104
	v_exp_f32_e32 v5, v5                                       // 000000011F34: 7E0A4105
	v_exp_f32_e32 v6, v6                                       // 000000011F38: 7E0C4106
	v_exp_f32_e32 v7, v7                                       // 000000011F3C: 7E0E4107
	v_add_f32_e64 v4, v4, 1.0                                  // 000000011F40: D1010004 0001E504
	v_add_f32_e64 v5, v5, 1.0                                  // 000000011F48: D1010005 0001E505
	v_add_f32_e64 v6, v6, 1.0                                  // 000000011F50: D1010006 0001E506
	v_add_f32_e64 v7, v7, 1.0                                  // 000000011F58: D1010007 0001E507
	v_rcp_f32_e32 v4, v4                                       // 000000011F60: 7E084504
	v_rcp_f32_e32 v5, v5                                       // 000000011F64: 7E0A4505
	v_rcp_f32_e32 v6, v6                                       // 000000011F68: 7E0C4506
	v_rcp_f32_e32 v7, v7                                       // 000000011F6C: 7E0E4507
	v_mul_f32_e32 v104, v104, v4                               // 000000011F70: 0AD00968
	v_mul_f32_e32 v105, v105, v5                               // 000000011F74: 0AD20B69
	v_mul_f32_e32 v106, v106, v6                               // 000000011F78: 0AD40D6A
	v_mul_f32_e32 v107, v107, v7                               // 000000011F7C: 0AD60F6B
	v_mul_f32_e32 v104, v104, v184                             // 000000011F80: 0AD17168
	v_mul_f32_e32 v105, v105, v185                             // 000000011F84: 0AD37369
	v_mul_f32_e32 v106, v106, v186                             // 000000011F88: 0AD5756A
	v_mul_f32_e32 v107, v107, v187                             // 000000011F8C: 0AD7776B
	v_pk_mul_f32 v[4:5], v[108:109], v[108:109]                // 000000011F90: D3B14004 1802D96C
	v_pk_mul_f32 v[6:7], v[110:111], v[110:111]                // 000000011F98: D3B14006 1802DD6E
	v_pk_fma_f32 v[4:5], v[4:5], s[78:79], v[8:9]              // 000000011FA0: D3B04004 1C209D04
	v_pk_fma_f32 v[6:7], v[6:7], s[78:79], v[8:9]              // 000000011FA8: D3B04006 1C209D06
	v_pk_mul_f32 v[4:5], v[4:5], v[108:109]                    // 000000011FB0: D3B14004 1802D904
	v_pk_mul_f32 v[6:7], v[6:7], v[110:111]                    // 000000011FB8: D3B14006 1802DD06
	v_pk_mul_f32 v[4:5], v[4:5], s[60:61]                      // 000000011FC0: D3B14004 18007904
	v_pk_mul_f32 v[6:7], v[6:7], s[60:61]                      // 000000011FC8: D3B14006 18007906
	v_exp_f32_e32 v4, v4                                       // 000000011FD0: 7E084104
	v_exp_f32_e32 v5, v5                                       // 000000011FD4: 7E0A4105
	v_exp_f32_e32 v6, v6                                       // 000000011FD8: 7E0C4106
	v_exp_f32_e32 v7, v7                                       // 000000011FDC: 7E0E4107
	v_add_f32_e64 v4, v4, 1.0                                  // 000000011FE0: D1010004 0001E504
	v_add_f32_e64 v5, v5, 1.0                                  // 000000011FE8: D1010005 0001E505
	v_add_f32_e64 v6, v6, 1.0                                  // 000000011FF0: D1010006 0001E506
	v_add_f32_e64 v7, v7, 1.0                                  // 000000011FF8: D1010007 0001E507
	v_rcp_f32_e32 v4, v4                                       // 000000012000: 7E084504
	v_rcp_f32_e32 v5, v5                                       // 000000012004: 7E0A4505
	v_rcp_f32_e32 v6, v6                                       // 000000012008: 7E0C4506
	v_rcp_f32_e32 v7, v7                                       // 00000001200C: 7E0E4507
	v_mul_f32_e32 v108, v108, v4                               // 000000012010: 0AD8096C
	v_mul_f32_e32 v109, v109, v5                               // 000000012014: 0ADA0B6D
	v_mul_f32_e32 v110, v110, v6                               // 000000012018: 0ADC0D6E
	v_mul_f32_e32 v111, v111, v7                               // 00000001201C: 0ADE0F6F
	v_mul_f32_e32 v108, v108, v188                             // 000000012020: 0AD9796C
	v_mul_f32_e32 v109, v109, v189                             // 000000012024: 0ADB7B6D
	v_mul_f32_e32 v110, v110, v190                             // 000000012028: 0ADD7D6E
	v_mul_f32_e32 v111, v111, v191                             // 00000001202C: 0ADF7F6F
	v_pk_mul_f32 v[4:5], v[112:113], v[112:113]                // 000000012030: D3B14004 1802E170
	v_pk_mul_f32 v[6:7], v[114:115], v[114:115]                // 000000012038: D3B14006 1802E572
	v_pk_fma_f32 v[4:5], v[4:5], s[78:79], v[8:9]              // 000000012040: D3B04004 1C209D04
	v_pk_fma_f32 v[6:7], v[6:7], s[78:79], v[8:9]              // 000000012048: D3B04006 1C209D06
	v_pk_mul_f32 v[4:5], v[4:5], v[112:113]                    // 000000012050: D3B14004 1802E104
	v_pk_mul_f32 v[6:7], v[6:7], v[114:115]                    // 000000012058: D3B14006 1802E506
	v_pk_mul_f32 v[4:5], v[4:5], s[60:61]                      // 000000012060: D3B14004 18007904
	v_pk_mul_f32 v[6:7], v[6:7], s[60:61]                      // 000000012068: D3B14006 18007906
	v_exp_f32_e32 v4, v4                                       // 000000012070: 7E084104
	v_exp_f32_e32 v5, v5                                       // 000000012074: 7E0A4105
	v_exp_f32_e32 v6, v6                                       // 000000012078: 7E0C4106
	v_exp_f32_e32 v7, v7                                       // 00000001207C: 7E0E4107
	v_add_f32_e64 v4, v4, 1.0                                  // 000000012080: D1010004 0001E504
	v_add_f32_e64 v5, v5, 1.0                                  // 000000012088: D1010005 0001E505
	v_add_f32_e64 v6, v6, 1.0                                  // 000000012090: D1010006 0001E506
	v_add_f32_e64 v7, v7, 1.0                                  // 000000012098: D1010007 0001E507
	v_rcp_f32_e32 v4, v4                                       // 0000000120A0: 7E084504
	v_rcp_f32_e32 v5, v5                                       // 0000000120A4: 7E0A4505
	v_rcp_f32_e32 v6, v6                                       // 0000000120A8: 7E0C4506
	v_rcp_f32_e32 v7, v7                                       // 0000000120AC: 7E0E4507
	v_mul_f32_e32 v112, v112, v4                               // 0000000120B0: 0AE00970
	v_mul_f32_e32 v113, v113, v5                               // 0000000120B4: 0AE20B71
	v_mul_f32_e32 v114, v114, v6                               // 0000000120B8: 0AE40D72
	v_mul_f32_e32 v115, v115, v7                               // 0000000120BC: 0AE60F73
	v_mul_f32_e32 v112, v112, v192                             // 0000000120C0: 0AE18170
	v_mul_f32_e32 v113, v113, v193                             // 0000000120C4: 0AE38371
	v_mul_f32_e32 v114, v114, v194                             // 0000000120C8: 0AE58572
	v_mul_f32_e32 v115, v115, v195                             // 0000000120CC: 0AE78773
	v_pk_mul_f32 v[4:5], v[116:117], v[116:117]                // 0000000120D0: D3B14004 1802E974
	v_pk_mul_f32 v[6:7], v[118:119], v[118:119]                // 0000000120D8: D3B14006 1802ED76
	v_pk_fma_f32 v[4:5], v[4:5], s[78:79], v[8:9]              // 0000000120E0: D3B04004 1C209D04
	v_pk_fma_f32 v[6:7], v[6:7], s[78:79], v[8:9]              // 0000000120E8: D3B04006 1C209D06
	v_pk_mul_f32 v[4:5], v[4:5], v[116:117]                    // 0000000120F0: D3B14004 1802E904
	v_pk_mul_f32 v[6:7], v[6:7], v[118:119]                    // 0000000120F8: D3B14006 1802ED06
	v_pk_mul_f32 v[4:5], v[4:5], s[60:61]                      // 000000012100: D3B14004 18007904
	v_pk_mul_f32 v[6:7], v[6:7], s[60:61]                      // 000000012108: D3B14006 18007906
	v_exp_f32_e32 v4, v4                                       // 000000012110: 7E084104
	v_exp_f32_e32 v5, v5                                       // 000000012114: 7E0A4105
	v_exp_f32_e32 v6, v6                                       // 000000012118: 7E0C4106
	v_exp_f32_e32 v7, v7                                       // 00000001211C: 7E0E4107
	v_add_f32_e64 v4, v4, 1.0                                  // 000000012120: D1010004 0001E504
	v_add_f32_e64 v5, v5, 1.0                                  // 000000012128: D1010005 0001E505
	v_add_f32_e64 v6, v6, 1.0                                  // 000000012130: D1010006 0001E506
	v_add_f32_e64 v7, v7, 1.0                                  // 000000012138: D1010007 0001E507
	v_rcp_f32_e32 v4, v4                                       // 000000012140: 7E084504
	v_rcp_f32_e32 v5, v5                                       // 000000012144: 7E0A4505
	v_rcp_f32_e32 v6, v6                                       // 000000012148: 7E0C4506
	v_rcp_f32_e32 v7, v7                                       // 00000001214C: 7E0E4507
	v_mul_f32_e32 v116, v116, v4                               // 000000012150: 0AE80974
	v_mul_f32_e32 v117, v117, v5                               // 000000012154: 0AEA0B75
	v_mul_f32_e32 v118, v118, v6                               // 000000012158: 0AEC0D76
	v_mul_f32_e32 v119, v119, v7                               // 00000001215C: 0AEE0F77
	v_mul_f32_e32 v116, v116, v196                             // 000000012160: 0AE98974
	v_mul_f32_e32 v117, v117, v197                             // 000000012164: 0AEB8B75
	v_mul_f32_e32 v118, v118, v198                             // 000000012168: 0AED8D76
	v_mul_f32_e32 v119, v119, v199                             // 00000001216C: 0AEF8F77
	v_pk_mul_f32 v[4:5], v[120:121], v[120:121]                // 000000012170: D3B14004 1802F178
	v_pk_mul_f32 v[6:7], v[122:123], v[122:123]                // 000000012178: D3B14006 1802F57A
	v_pk_fma_f32 v[4:5], v[4:5], s[78:79], v[8:9]              // 000000012180: D3B04004 1C209D04
	v_pk_fma_f32 v[6:7], v[6:7], s[78:79], v[8:9]              // 000000012188: D3B04006 1C209D06
	v_pk_mul_f32 v[4:5], v[4:5], v[120:121]                    // 000000012190: D3B14004 1802F104
	v_pk_mul_f32 v[6:7], v[6:7], v[122:123]                    // 000000012198: D3B14006 1802F506
	v_pk_mul_f32 v[4:5], v[4:5], s[60:61]                      // 0000000121A0: D3B14004 18007904
	v_pk_mul_f32 v[6:7], v[6:7], s[60:61]                      // 0000000121A8: D3B14006 18007906
	v_exp_f32_e32 v4, v4                                       // 0000000121B0: 7E084104
	v_exp_f32_e32 v5, v5                                       // 0000000121B4: 7E0A4105
	v_exp_f32_e32 v6, v6                                       // 0000000121B8: 7E0C4106
	v_exp_f32_e32 v7, v7                                       // 0000000121BC: 7E0E4107
	v_add_f32_e64 v4, v4, 1.0                                  // 0000000121C0: D1010004 0001E504
	v_add_f32_e64 v5, v5, 1.0                                  // 0000000121C8: D1010005 0001E505
	v_add_f32_e64 v6, v6, 1.0                                  // 0000000121D0: D1010006 0001E506
	v_add_f32_e64 v7, v7, 1.0                                  // 0000000121D8: D1010007 0001E507
	v_rcp_f32_e32 v4, v4                                       // 0000000121E0: 7E084504
	v_rcp_f32_e32 v5, v5                                       // 0000000121E4: 7E0A4505
	v_rcp_f32_e32 v6, v6                                       // 0000000121E8: 7E0C4506
	v_rcp_f32_e32 v7, v7                                       // 0000000121EC: 7E0E4507
	v_mul_f32_e32 v120, v120, v4                               // 0000000121F0: 0AF00978
	v_mul_f32_e32 v121, v121, v5                               // 0000000121F4: 0AF20B79
	v_mul_f32_e32 v122, v122, v6                               // 0000000121F8: 0AF40D7A
	v_mul_f32_e32 v123, v123, v7                               // 0000000121FC: 0AF60F7B
	v_mul_f32_e32 v120, v120, v200                             // 000000012200: 0AF19178
	v_mul_f32_e32 v121, v121, v201                             // 000000012204: 0AF39379
	v_mul_f32_e32 v122, v122, v202                             // 000000012208: 0AF5957A
	v_mul_f32_e32 v123, v123, v203                             // 00000001220C: 0AF7977B
	v_pk_mul_f32 v[4:5], v[124:125], v[124:125]                // 000000012210: D3B14004 1802F97C
	v_pk_mul_f32 v[6:7], v[126:127], v[126:127]                // 000000012218: D3B14006 1802FD7E
	v_pk_fma_f32 v[4:5], v[4:5], s[78:79], v[8:9]              // 000000012220: D3B04004 1C209D04
	v_pk_fma_f32 v[6:7], v[6:7], s[78:79], v[8:9]              // 000000012228: D3B04006 1C209D06
	v_pk_mul_f32 v[4:5], v[4:5], v[124:125]                    // 000000012230: D3B14004 1802F904
	v_pk_mul_f32 v[6:7], v[6:7], v[126:127]                    // 000000012238: D3B14006 1802FD06
	v_pk_mul_f32 v[4:5], v[4:5], s[60:61]                      // 000000012240: D3B14004 18007904
	v_pk_mul_f32 v[6:7], v[6:7], s[60:61]                      // 000000012248: D3B14006 18007906
	v_exp_f32_e32 v4, v4                                       // 000000012250: 7E084104
	v_exp_f32_e32 v5, v5                                       // 000000012254: 7E0A4105
	v_exp_f32_e32 v6, v6                                       // 000000012258: 7E0C4106
	v_exp_f32_e32 v7, v7                                       // 00000001225C: 7E0E4107
	v_add_f32_e64 v4, v4, 1.0                                  // 000000012260: D1010004 0001E504
	v_add_f32_e64 v5, v5, 1.0                                  // 000000012268: D1010005 0001E505
	v_add_f32_e64 v6, v6, 1.0                                  // 000000012270: D1010006 0001E506
	v_add_f32_e64 v7, v7, 1.0                                  // 000000012278: D1010007 0001E507
	v_rcp_f32_e32 v4, v4                                       // 000000012280: 7E084504
	v_rcp_f32_e32 v5, v5                                       // 000000012284: 7E0A4505
	v_rcp_f32_e32 v6, v6                                       // 000000012288: 7E0C4506
	v_rcp_f32_e32 v7, v7                                       // 00000001228C: 7E0E4507
	v_mul_f32_e32 v124, v124, v4                               // 000000012290: 0AF8097C
	v_mul_f32_e32 v125, v125, v5                               // 000000012294: 0AFA0B7D
	v_mul_f32_e32 v126, v126, v6                               // 000000012298: 0AFC0D7E
	v_mul_f32_e32 v127, v127, v7                               // 00000001229C: 0AFE0F7F
	v_mul_f32_e32 v124, v124, v204                             // 0000000122A0: 0AF9997C
	v_mul_f32_e32 v125, v125, v205                             // 0000000122A4: 0AFB9B7D
	v_mul_f32_e32 v126, v126, v206                             // 0000000122A8: 0AFD9D7E
	v_mul_f32_e32 v127, v127, v207                             // 0000000122AC: 0AFF9F7F
	v_pk_mul_f32 v[4:5], v[128:129], v[128:129]                // 0000000122B0: D3B14004 18030180
	v_pk_mul_f32 v[6:7], v[130:131], v[130:131]                // 0000000122B8: D3B14006 18030582
	v_pk_fma_f32 v[4:5], v[4:5], s[78:79], v[8:9]              // 0000000122C0: D3B04004 1C209D04
	v_pk_fma_f32 v[6:7], v[6:7], s[78:79], v[8:9]              // 0000000122C8: D3B04006 1C209D06
	v_pk_mul_f32 v[4:5], v[4:5], v[128:129]                    // 0000000122D0: D3B14004 18030104
	v_pk_mul_f32 v[6:7], v[6:7], v[130:131]                    // 0000000122D8: D3B14006 18030506
	v_pk_mul_f32 v[4:5], v[4:5], s[60:61]                      // 0000000122E0: D3B14004 18007904
	v_pk_mul_f32 v[6:7], v[6:7], s[60:61]                      // 0000000122E8: D3B14006 18007906
	v_exp_f32_e32 v4, v4                                       // 0000000122F0: 7E084104
	v_exp_f32_e32 v5, v5                                       // 0000000122F4: 7E0A4105
	v_exp_f32_e32 v6, v6                                       // 0000000122F8: 7E0C4106
	v_exp_f32_e32 v7, v7                                       // 0000000122FC: 7E0E4107
	v_add_f32_e64 v4, v4, 1.0                                  // 000000012300: D1010004 0001E504
	v_add_f32_e64 v5, v5, 1.0                                  // 000000012308: D1010005 0001E505
	v_add_f32_e64 v6, v6, 1.0                                  // 000000012310: D1010006 0001E506
	v_add_f32_e64 v7, v7, 1.0                                  // 000000012318: D1010007 0001E507
	v_rcp_f32_e32 v4, v4                                       // 000000012320: 7E084504
	v_rcp_f32_e32 v5, v5                                       // 000000012324: 7E0A4505
	v_rcp_f32_e32 v6, v6                                       // 000000012328: 7E0C4506
	v_rcp_f32_e32 v7, v7                                       // 00000001232C: 7E0E4507
	v_mul_f32_e32 v128, v128, v4                               // 000000012330: 0B000980
	v_mul_f32_e32 v129, v129, v5                               // 000000012334: 0B020B81
	v_mul_f32_e32 v130, v130, v6                               // 000000012338: 0B040D82
	v_mul_f32_e32 v131, v131, v7                               // 00000001233C: 0B060F83
	v_mul_f32_e32 v128, v128, v208                             // 000000012340: 0B01A180
	v_mul_f32_e32 v129, v129, v209                             // 000000012344: 0B03A381
	v_mul_f32_e32 v130, v130, v210                             // 000000012348: 0B05A582
	v_mul_f32_e32 v131, v131, v211                             // 00000001234C: 0B07A783
	v_pk_mul_f32 v[4:5], v[132:133], v[132:133]                // 000000012350: D3B14004 18030984
	v_pk_mul_f32 v[6:7], v[134:135], v[134:135]                // 000000012358: D3B14006 18030D86
	v_pk_fma_f32 v[4:5], v[4:5], s[78:79], v[8:9]              // 000000012360: D3B04004 1C209D04
	v_pk_fma_f32 v[6:7], v[6:7], s[78:79], v[8:9]              // 000000012368: D3B04006 1C209D06
	v_pk_mul_f32 v[4:5], v[4:5], v[132:133]                    // 000000012370: D3B14004 18030904
	v_pk_mul_f32 v[6:7], v[6:7], v[134:135]                    // 000000012378: D3B14006 18030D06
	v_pk_mul_f32 v[4:5], v[4:5], s[60:61]                      // 000000012380: D3B14004 18007904
	v_pk_mul_f32 v[6:7], v[6:7], s[60:61]                      // 000000012388: D3B14006 18007906
	v_exp_f32_e32 v4, v4                                       // 000000012390: 7E084104
	v_exp_f32_e32 v5, v5                                       // 000000012394: 7E0A4105
	v_exp_f32_e32 v6, v6                                       // 000000012398: 7E0C4106
	v_exp_f32_e32 v7, v7                                       // 00000001239C: 7E0E4107
	v_add_f32_e64 v4, v4, 1.0                                  // 0000000123A0: D1010004 0001E504
	v_add_f32_e64 v5, v5, 1.0                                  // 0000000123A8: D1010005 0001E505
	v_add_f32_e64 v6, v6, 1.0                                  // 0000000123B0: D1010006 0001E506
	v_add_f32_e64 v7, v7, 1.0                                  // 0000000123B8: D1010007 0001E507
	v_rcp_f32_e32 v4, v4                                       // 0000000123C0: 7E084504
	v_rcp_f32_e32 v5, v5                                       // 0000000123C4: 7E0A4505
	v_rcp_f32_e32 v6, v6                                       // 0000000123C8: 7E0C4506
	v_rcp_f32_e32 v7, v7                                       // 0000000123CC: 7E0E4507
	v_mul_f32_e32 v132, v132, v4                               // 0000000123D0: 0B080984
	v_mul_f32_e32 v133, v133, v5                               // 0000000123D4: 0B0A0B85
	v_mul_f32_e32 v134, v134, v6                               // 0000000123D8: 0B0C0D86
	v_mul_f32_e32 v135, v135, v7                               // 0000000123DC: 0B0E0F87
	v_mul_f32_e32 v132, v132, v212                             // 0000000123E0: 0B09A984
	v_mul_f32_e32 v133, v133, v213                             // 0000000123E4: 0B0BAB85
	v_mul_f32_e32 v134, v134, v214                             // 0000000123E8: 0B0DAD86
	v_mul_f32_e32 v135, v135, v215                             // 0000000123EC: 0B0FAF87
	v_pk_mul_f32 v[4:5], v[136:137], v[136:137]                // 0000000123F0: D3B14004 18031188
	v_pk_mul_f32 v[6:7], v[138:139], v[138:139]                // 0000000123F8: D3B14006 1803158A
	v_pk_fma_f32 v[4:5], v[4:5], s[78:79], v[8:9]              // 000000012400: D3B04004 1C209D04
	v_pk_fma_f32 v[6:7], v[6:7], s[78:79], v[8:9]              // 000000012408: D3B04006 1C209D06
	v_pk_mul_f32 v[4:5], v[4:5], v[136:137]                    // 000000012410: D3B14004 18031104
	v_pk_mul_f32 v[6:7], v[6:7], v[138:139]                    // 000000012418: D3B14006 18031506
	v_pk_mul_f32 v[4:5], v[4:5], s[60:61]                      // 000000012420: D3B14004 18007904
	v_pk_mul_f32 v[6:7], v[6:7], s[60:61]                      // 000000012428: D3B14006 18007906
	v_exp_f32_e32 v4, v4                                       // 000000012430: 7E084104
	v_exp_f32_e32 v5, v5                                       // 000000012434: 7E0A4105
	v_exp_f32_e32 v6, v6                                       // 000000012438: 7E0C4106
	v_exp_f32_e32 v7, v7                                       // 00000001243C: 7E0E4107
	v_add_f32_e64 v4, v4, 1.0                                  // 000000012440: D1010004 0001E504
	v_add_f32_e64 v5, v5, 1.0                                  // 000000012448: D1010005 0001E505
	v_add_f32_e64 v6, v6, 1.0                                  // 000000012450: D1010006 0001E506
	v_add_f32_e64 v7, v7, 1.0                                  // 000000012458: D1010007 0001E507
	v_rcp_f32_e32 v4, v4                                       // 000000012460: 7E084504
	v_rcp_f32_e32 v5, v5                                       // 000000012464: 7E0A4505
	v_rcp_f32_e32 v6, v6                                       // 000000012468: 7E0C4506
	v_rcp_f32_e32 v7, v7                                       // 00000001246C: 7E0E4507
	v_mul_f32_e32 v136, v136, v4                               // 000000012470: 0B100988
	v_mul_f32_e32 v137, v137, v5                               // 000000012474: 0B120B89
	v_mul_f32_e32 v138, v138, v6                               // 000000012478: 0B140D8A
	v_mul_f32_e32 v139, v139, v7                               // 00000001247C: 0B160F8B
	v_mul_f32_e32 v136, v136, v216                             // 000000012480: 0B11B188
	v_mul_f32_e32 v137, v137, v217                             // 000000012484: 0B13B389
	v_mul_f32_e32 v138, v138, v218                             // 000000012488: 0B15B58A
	v_mul_f32_e32 v139, v139, v219                             // 00000001248C: 0B17B78B
	v_pk_mul_f32 v[4:5], v[140:141], v[140:141]                // 000000012490: D3B14004 1803198C
	v_pk_mul_f32 v[6:7], v[142:143], v[142:143]                // 000000012498: D3B14006 18031D8E
	v_pk_fma_f32 v[4:5], v[4:5], s[78:79], v[8:9]              // 0000000124A0: D3B04004 1C209D04
	v_pk_fma_f32 v[6:7], v[6:7], s[78:79], v[8:9]              // 0000000124A8: D3B04006 1C209D06
	v_pk_mul_f32 v[4:5], v[4:5], v[140:141]                    // 0000000124B0: D3B14004 18031904
	v_pk_mul_f32 v[6:7], v[6:7], v[142:143]                    // 0000000124B8: D3B14006 18031D06
	v_pk_mul_f32 v[4:5], v[4:5], s[60:61]                      // 0000000124C0: D3B14004 18007904
	v_pk_mul_f32 v[6:7], v[6:7], s[60:61]                      // 0000000124C8: D3B14006 18007906
	v_exp_f32_e32 v4, v4                                       // 0000000124D0: 7E084104
	v_exp_f32_e32 v5, v5                                       // 0000000124D4: 7E0A4105
	v_exp_f32_e32 v6, v6                                       // 0000000124D8: 7E0C4106
	v_exp_f32_e32 v7, v7                                       // 0000000124DC: 7E0E4107
	v_add_f32_e64 v4, v4, 1.0                                  // 0000000124E0: D1010004 0001E504
	v_add_f32_e64 v5, v5, 1.0                                  // 0000000124E8: D1010005 0001E505
	v_add_f32_e64 v6, v6, 1.0                                  // 0000000124F0: D1010006 0001E506
	v_add_f32_e64 v7, v7, 1.0                                  // 0000000124F8: D1010007 0001E507
	v_rcp_f32_e32 v4, v4                                       // 000000012500: 7E084504
	v_rcp_f32_e32 v5, v5                                       // 000000012504: 7E0A4505
	v_rcp_f32_e32 v6, v6                                       // 000000012508: 7E0C4506
	v_rcp_f32_e32 v7, v7                                       // 00000001250C: 7E0E4507
	v_mul_f32_e32 v140, v140, v4                               // 000000012510: 0B18098C
	v_mul_f32_e32 v141, v141, v5                               // 000000012514: 0B1A0B8D
	v_mul_f32_e32 v142, v142, v6                               // 000000012518: 0B1C0D8E
	v_mul_f32_e32 v143, v143, v7                               // 00000001251C: 0B1E0F8F
	v_mul_f32_e32 v140, v140, v220                             // 000000012520: 0B19B98C
	v_mul_f32_e32 v141, v141, v221                             // 000000012524: 0B1BBB8D
	v_mul_f32_e32 v142, v142, v222                             // 000000012528: 0B1DBD8E
	v_mul_f32_e32 v143, v143, v223                             // 00000001252C: 0B1FBF8F
	s_branch label_4150                                        // 000000012530: BF820280

0000000000012534 <label_3ED0>:
	v_mul_f32_e64 v4, -v64, s6                                 // 000000012534: D1050004 20000D40
	v_mul_f32_e64 v5, -v65, s6                                 // 00000001253C: D1050005 20000D41
	v_mul_f32_e64 v6, -v66, s6                                 // 000000012544: D1050006 20000D42
	v_mul_f32_e64 v7, -v67, s6                                 // 00000001254C: D1050007 20000D43
	v_exp_f32_e32 v4, v4                                       // 000000012554: 7E084104
	v_exp_f32_e32 v5, v5                                       // 000000012558: 7E0A4105
	v_exp_f32_e32 v6, v6                                       // 00000001255C: 7E0C4106
	v_exp_f32_e32 v7, v7                                       // 000000012560: 7E0E4107
	v_add_f32_e64 v4, v4, 1.0                                  // 000000012564: D1010004 0001E504
	v_add_f32_e64 v5, v5, 1.0                                  // 00000001256C: D1010005 0001E505
	v_add_f32_e64 v6, v6, 1.0                                  // 000000012574: D1010006 0001E506
	v_add_f32_e64 v7, v7, 1.0                                  // 00000001257C: D1010007 0001E507
	v_rcp_f32_e32 v4, v4                                       // 000000012584: 7E084504
	v_rcp_f32_e32 v5, v5                                       // 000000012588: 7E0A4505
	v_rcp_f32_e32 v6, v6                                       // 00000001258C: 7E0C4506
	v_rcp_f32_e32 v7, v7                                       // 000000012590: 7E0E4507
	v_mul_f32_e32 v64, v64, v4                                 // 000000012594: 0A800940
	v_mul_f32_e32 v65, v65, v5                                 // 000000012598: 0A820B41
	v_mul_f32_e32 v66, v66, v6                                 // 00000001259C: 0A840D42
	v_mul_f32_e32 v67, v67, v7                                 // 0000000125A0: 0A860F43
	v_mul_f32_e32 v64, v64, v144                               // 0000000125A4: 0A812140
	v_mul_f32_e32 v65, v65, v145                               // 0000000125A8: 0A832341
	v_mul_f32_e32 v66, v66, v146                               // 0000000125AC: 0A852542
	v_mul_f32_e32 v67, v67, v147                               // 0000000125B0: 0A872743
	v_mul_f32_e64 v4, -v68, s6                                 // 0000000125B4: D1050004 20000D44
	v_mul_f32_e64 v5, -v69, s6                                 // 0000000125BC: D1050005 20000D45
	v_mul_f32_e64 v6, -v70, s6                                 // 0000000125C4: D1050006 20000D46
	v_mul_f32_e64 v7, -v71, s6                                 // 0000000125CC: D1050007 20000D47
	v_exp_f32_e32 v4, v4                                       // 0000000125D4: 7E084104
	v_exp_f32_e32 v5, v5                                       // 0000000125D8: 7E0A4105
	v_exp_f32_e32 v6, v6                                       // 0000000125DC: 7E0C4106
	v_exp_f32_e32 v7, v7                                       // 0000000125E0: 7E0E4107
	v_add_f32_e64 v4, v4, 1.0                                  // 0000000125E4: D1010004 0001E504
	v_add_f32_e64 v5, v5, 1.0                                  // 0000000125EC: D1010005 0001E505
	v_add_f32_e64 v6, v6, 1.0                                  // 0000000125F4: D1010006 0001E506
	v_add_f32_e64 v7, v7, 1.0                                  // 0000000125FC: D1010007 0001E507
	v_rcp_f32_e32 v4, v4                                       // 000000012604: 7E084504
	v_rcp_f32_e32 v5, v5                                       // 000000012608: 7E0A4505
	v_rcp_f32_e32 v6, v6                                       // 00000001260C: 7E0C4506
	v_rcp_f32_e32 v7, v7                                       // 000000012610: 7E0E4507
	v_mul_f32_e32 v68, v68, v4                                 // 000000012614: 0A880944
	v_mul_f32_e32 v69, v69, v5                                 // 000000012618: 0A8A0B45
	v_mul_f32_e32 v70, v70, v6                                 // 00000001261C: 0A8C0D46
	v_mul_f32_e32 v71, v71, v7                                 // 000000012620: 0A8E0F47
	v_mul_f32_e32 v68, v68, v148                               // 000000012624: 0A892944
	v_mul_f32_e32 v69, v69, v149                               // 000000012628: 0A8B2B45
	v_mul_f32_e32 v70, v70, v150                               // 00000001262C: 0A8D2D46
	v_mul_f32_e32 v71, v71, v151                               // 000000012630: 0A8F2F47
	v_mul_f32_e64 v4, -v72, s6                                 // 000000012634: D1050004 20000D48
	v_mul_f32_e64 v5, -v73, s6                                 // 00000001263C: D1050005 20000D49
	v_mul_f32_e64 v6, -v74, s6                                 // 000000012644: D1050006 20000D4A
	v_mul_f32_e64 v7, -v75, s6                                 // 00000001264C: D1050007 20000D4B
	v_exp_f32_e32 v4, v4                                       // 000000012654: 7E084104
	v_exp_f32_e32 v5, v5                                       // 000000012658: 7E0A4105
	v_exp_f32_e32 v6, v6                                       // 00000001265C: 7E0C4106
	v_exp_f32_e32 v7, v7                                       // 000000012660: 7E0E4107
	v_add_f32_e64 v4, v4, 1.0                                  // 000000012664: D1010004 0001E504
	v_add_f32_e64 v5, v5, 1.0                                  // 00000001266C: D1010005 0001E505
	v_add_f32_e64 v6, v6, 1.0                                  // 000000012674: D1010006 0001E506
	v_add_f32_e64 v7, v7, 1.0                                  // 00000001267C: D1010007 0001E507
	v_rcp_f32_e32 v4, v4                                       // 000000012684: 7E084504
	v_rcp_f32_e32 v5, v5                                       // 000000012688: 7E0A4505
	v_rcp_f32_e32 v6, v6                                       // 00000001268C: 7E0C4506
	v_rcp_f32_e32 v7, v7                                       // 000000012690: 7E0E4507
	v_mul_f32_e32 v72, v72, v4                                 // 000000012694: 0A900948
	v_mul_f32_e32 v73, v73, v5                                 // 000000012698: 0A920B49
	v_mul_f32_e32 v74, v74, v6                                 // 00000001269C: 0A940D4A
	v_mul_f32_e32 v75, v75, v7                                 // 0000000126A0: 0A960F4B
	v_mul_f32_e32 v72, v72, v152                               // 0000000126A4: 0A913148
	v_mul_f32_e32 v73, v73, v153                               // 0000000126A8: 0A933349
	v_mul_f32_e32 v74, v74, v154                               // 0000000126AC: 0A95354A
	v_mul_f32_e32 v75, v75, v155                               // 0000000126B0: 0A97374B
	v_mul_f32_e64 v4, -v76, s6                                 // 0000000126B4: D1050004 20000D4C
	v_mul_f32_e64 v5, -v77, s6                                 // 0000000126BC: D1050005 20000D4D
	v_mul_f32_e64 v6, -v78, s6                                 // 0000000126C4: D1050006 20000D4E
	v_mul_f32_e64 v7, -v79, s6                                 // 0000000126CC: D1050007 20000D4F
	v_exp_f32_e32 v4, v4                                       // 0000000126D4: 7E084104
	v_exp_f32_e32 v5, v5                                       // 0000000126D8: 7E0A4105
	v_exp_f32_e32 v6, v6                                       // 0000000126DC: 7E0C4106
	v_exp_f32_e32 v7, v7                                       // 0000000126E0: 7E0E4107
	v_add_f32_e64 v4, v4, 1.0                                  // 0000000126E4: D1010004 0001E504
	v_add_f32_e64 v5, v5, 1.0                                  // 0000000126EC: D1010005 0001E505
	v_add_f32_e64 v6, v6, 1.0                                  // 0000000126F4: D1010006 0001E506
	v_add_f32_e64 v7, v7, 1.0                                  // 0000000126FC: D1010007 0001E507
	v_rcp_f32_e32 v4, v4                                       // 000000012704: 7E084504
	v_rcp_f32_e32 v5, v5                                       // 000000012708: 7E0A4505
	v_rcp_f32_e32 v6, v6                                       // 00000001270C: 7E0C4506
	v_rcp_f32_e32 v7, v7                                       // 000000012710: 7E0E4507
	v_mul_f32_e32 v76, v76, v4                                 // 000000012714: 0A98094C
	v_mul_f32_e32 v77, v77, v5                                 // 000000012718: 0A9A0B4D
	v_mul_f32_e32 v78, v78, v6                                 // 00000001271C: 0A9C0D4E
	v_mul_f32_e32 v79, v79, v7                                 // 000000012720: 0A9E0F4F
	v_mul_f32_e32 v76, v76, v156                               // 000000012724: 0A99394C
	v_mul_f32_e32 v77, v77, v157                               // 000000012728: 0A9B3B4D
	v_mul_f32_e32 v78, v78, v158                               // 00000001272C: 0A9D3D4E
	v_mul_f32_e32 v79, v79, v159                               // 000000012730: 0A9F3F4F
	v_mul_f32_e64 v4, -v80, s6                                 // 000000012734: D1050004 20000D50
	v_mul_f32_e64 v5, -v81, s6                                 // 00000001273C: D1050005 20000D51
	v_mul_f32_e64 v6, -v82, s6                                 // 000000012744: D1050006 20000D52
	v_mul_f32_e64 v7, -v83, s6                                 // 00000001274C: D1050007 20000D53
	v_exp_f32_e32 v4, v4                                       // 000000012754: 7E084104
	v_exp_f32_e32 v5, v5                                       // 000000012758: 7E0A4105
	v_exp_f32_e32 v6, v6                                       // 00000001275C: 7E0C4106
	v_exp_f32_e32 v7, v7                                       // 000000012760: 7E0E4107
	v_add_f32_e64 v4, v4, 1.0                                  // 000000012764: D1010004 0001E504
	v_add_f32_e64 v5, v5, 1.0                                  // 00000001276C: D1010005 0001E505
	v_add_f32_e64 v6, v6, 1.0                                  // 000000012774: D1010006 0001E506
	v_add_f32_e64 v7, v7, 1.0                                  // 00000001277C: D1010007 0001E507
	v_rcp_f32_e32 v4, v4                                       // 000000012784: 7E084504
	v_rcp_f32_e32 v5, v5                                       // 000000012788: 7E0A4505
	v_rcp_f32_e32 v6, v6                                       // 00000001278C: 7E0C4506
	v_rcp_f32_e32 v7, v7                                       // 000000012790: 7E0E4507
	v_mul_f32_e32 v80, v80, v4                                 // 000000012794: 0AA00950
	v_mul_f32_e32 v81, v81, v5                                 // 000000012798: 0AA20B51
	v_mul_f32_e32 v82, v82, v6                                 // 00000001279C: 0AA40D52
	v_mul_f32_e32 v83, v83, v7                                 // 0000000127A0: 0AA60F53
	v_mul_f32_e32 v80, v80, v160                               // 0000000127A4: 0AA14150
	v_mul_f32_e32 v81, v81, v161                               // 0000000127A8: 0AA34351
	v_mul_f32_e32 v82, v82, v162                               // 0000000127AC: 0AA54552
	v_mul_f32_e32 v83, v83, v163                               // 0000000127B0: 0AA74753
	v_mul_f32_e64 v4, -v84, s6                                 // 0000000127B4: D1050004 20000D54
	v_mul_f32_e64 v5, -v85, s6                                 // 0000000127BC: D1050005 20000D55
	v_mul_f32_e64 v6, -v86, s6                                 // 0000000127C4: D1050006 20000D56
	v_mul_f32_e64 v7, -v87, s6                                 // 0000000127CC: D1050007 20000D57
	v_exp_f32_e32 v4, v4                                       // 0000000127D4: 7E084104
	v_exp_f32_e32 v5, v5                                       // 0000000127D8: 7E0A4105
	v_exp_f32_e32 v6, v6                                       // 0000000127DC: 7E0C4106
	v_exp_f32_e32 v7, v7                                       // 0000000127E0: 7E0E4107
	v_add_f32_e64 v4, v4, 1.0                                  // 0000000127E4: D1010004 0001E504
	v_add_f32_e64 v5, v5, 1.0                                  // 0000000127EC: D1010005 0001E505
	v_add_f32_e64 v6, v6, 1.0                                  // 0000000127F4: D1010006 0001E506
	v_add_f32_e64 v7, v7, 1.0                                  // 0000000127FC: D1010007 0001E507
	v_rcp_f32_e32 v4, v4                                       // 000000012804: 7E084504
	v_rcp_f32_e32 v5, v5                                       // 000000012808: 7E0A4505
	v_rcp_f32_e32 v6, v6                                       // 00000001280C: 7E0C4506
	v_rcp_f32_e32 v7, v7                                       // 000000012810: 7E0E4507
	v_mul_f32_e32 v84, v84, v4                                 // 000000012814: 0AA80954
	v_mul_f32_e32 v85, v85, v5                                 // 000000012818: 0AAA0B55
	v_mul_f32_e32 v86, v86, v6                                 // 00000001281C: 0AAC0D56
	v_mul_f32_e32 v87, v87, v7                                 // 000000012820: 0AAE0F57
	v_mul_f32_e32 v84, v84, v164                               // 000000012824: 0AA94954
	v_mul_f32_e32 v85, v85, v165                               // 000000012828: 0AAB4B55
	v_mul_f32_e32 v86, v86, v166                               // 00000001282C: 0AAD4D56
	v_mul_f32_e32 v87, v87, v167                               // 000000012830: 0AAF4F57
	v_mul_f32_e64 v4, -v88, s6                                 // 000000012834: D1050004 20000D58
	v_mul_f32_e64 v5, -v89, s6                                 // 00000001283C: D1050005 20000D59
	v_mul_f32_e64 v6, -v90, s6                                 // 000000012844: D1050006 20000D5A
	v_mul_f32_e64 v7, -v91, s6                                 // 00000001284C: D1050007 20000D5B
	v_exp_f32_e32 v4, v4                                       // 000000012854: 7E084104
	v_exp_f32_e32 v5, v5                                       // 000000012858: 7E0A4105
	v_exp_f32_e32 v6, v6                                       // 00000001285C: 7E0C4106
	v_exp_f32_e32 v7, v7                                       // 000000012860: 7E0E4107
	v_add_f32_e64 v4, v4, 1.0                                  // 000000012864: D1010004 0001E504
	v_add_f32_e64 v5, v5, 1.0                                  // 00000001286C: D1010005 0001E505
	v_add_f32_e64 v6, v6, 1.0                                  // 000000012874: D1010006 0001E506
	v_add_f32_e64 v7, v7, 1.0                                  // 00000001287C: D1010007 0001E507
	v_rcp_f32_e32 v4, v4                                       // 000000012884: 7E084504
	v_rcp_f32_e32 v5, v5                                       // 000000012888: 7E0A4505
	v_rcp_f32_e32 v6, v6                                       // 00000001288C: 7E0C4506
	v_rcp_f32_e32 v7, v7                                       // 000000012890: 7E0E4507
	v_mul_f32_e32 v88, v88, v4                                 // 000000012894: 0AB00958
	v_mul_f32_e32 v89, v89, v5                                 // 000000012898: 0AB20B59
	v_mul_f32_e32 v90, v90, v6                                 // 00000001289C: 0AB40D5A
	v_mul_f32_e32 v91, v91, v7                                 // 0000000128A0: 0AB60F5B
	v_mul_f32_e32 v88, v88, v168                               // 0000000128A4: 0AB15158
	v_mul_f32_e32 v89, v89, v169                               // 0000000128A8: 0AB35359
	v_mul_f32_e32 v90, v90, v170                               // 0000000128AC: 0AB5555A
	v_mul_f32_e32 v91, v91, v171                               // 0000000128B0: 0AB7575B
	v_mul_f32_e64 v4, -v92, s6                                 // 0000000128B4: D1050004 20000D5C
	v_mul_f32_e64 v5, -v93, s6                                 // 0000000128BC: D1050005 20000D5D
	v_mul_f32_e64 v6, -v94, s6                                 // 0000000128C4: D1050006 20000D5E
	v_mul_f32_e64 v7, -v95, s6                                 // 0000000128CC: D1050007 20000D5F
	v_exp_f32_e32 v4, v4                                       // 0000000128D4: 7E084104
	v_exp_f32_e32 v5, v5                                       // 0000000128D8: 7E0A4105
	v_exp_f32_e32 v6, v6                                       // 0000000128DC: 7E0C4106
	v_exp_f32_e32 v7, v7                                       // 0000000128E0: 7E0E4107
	v_add_f32_e64 v4, v4, 1.0                                  // 0000000128E4: D1010004 0001E504
	v_add_f32_e64 v5, v5, 1.0                                  // 0000000128EC: D1010005 0001E505
	v_add_f32_e64 v6, v6, 1.0                                  // 0000000128F4: D1010006 0001E506
	v_add_f32_e64 v7, v7, 1.0                                  // 0000000128FC: D1010007 0001E507
	v_rcp_f32_e32 v4, v4                                       // 000000012904: 7E084504
	v_rcp_f32_e32 v5, v5                                       // 000000012908: 7E0A4505
	v_rcp_f32_e32 v6, v6                                       // 00000001290C: 7E0C4506
	v_rcp_f32_e32 v7, v7                                       // 000000012910: 7E0E4507
	v_mul_f32_e32 v92, v92, v4                                 // 000000012914: 0AB8095C
	v_mul_f32_e32 v93, v93, v5                                 // 000000012918: 0ABA0B5D
	v_mul_f32_e32 v94, v94, v6                                 // 00000001291C: 0ABC0D5E
	v_mul_f32_e32 v95, v95, v7                                 // 000000012920: 0ABE0F5F
	v_mul_f32_e32 v92, v92, v172                               // 000000012924: 0AB9595C
	v_mul_f32_e32 v93, v93, v173                               // 000000012928: 0ABB5B5D
	v_mul_f32_e32 v94, v94, v174                               // 00000001292C: 0ABD5D5E
	v_mul_f32_e32 v95, v95, v175                               // 000000012930: 0ABF5F5F
	v_mul_f32_e64 v4, -v96, s6                                 // 000000012934: D1050004 20000D60
	v_mul_f32_e64 v5, -v97, s6                                 // 00000001293C: D1050005 20000D61
	v_mul_f32_e64 v6, -v98, s6                                 // 000000012944: D1050006 20000D62
	v_mul_f32_e64 v7, -v99, s6                                 // 00000001294C: D1050007 20000D63
	v_exp_f32_e32 v4, v4                                       // 000000012954: 7E084104
	v_exp_f32_e32 v5, v5                                       // 000000012958: 7E0A4105
	v_exp_f32_e32 v6, v6                                       // 00000001295C: 7E0C4106
	v_exp_f32_e32 v7, v7                                       // 000000012960: 7E0E4107
	v_add_f32_e64 v4, v4, 1.0                                  // 000000012964: D1010004 0001E504
	v_add_f32_e64 v5, v5, 1.0                                  // 00000001296C: D1010005 0001E505
	v_add_f32_e64 v6, v6, 1.0                                  // 000000012974: D1010006 0001E506
	v_add_f32_e64 v7, v7, 1.0                                  // 00000001297C: D1010007 0001E507
	v_rcp_f32_e32 v4, v4                                       // 000000012984: 7E084504
	v_rcp_f32_e32 v5, v5                                       // 000000012988: 7E0A4505
	v_rcp_f32_e32 v6, v6                                       // 00000001298C: 7E0C4506
	v_rcp_f32_e32 v7, v7                                       // 000000012990: 7E0E4507
	v_mul_f32_e32 v96, v96, v4                                 // 000000012994: 0AC00960
	v_mul_f32_e32 v97, v97, v5                                 // 000000012998: 0AC20B61
	v_mul_f32_e32 v98, v98, v6                                 // 00000001299C: 0AC40D62
	v_mul_f32_e32 v99, v99, v7                                 // 0000000129A0: 0AC60F63
	v_mul_f32_e32 v96, v96, v176                               // 0000000129A4: 0AC16160
	v_mul_f32_e32 v97, v97, v177                               // 0000000129A8: 0AC36361
	v_mul_f32_e32 v98, v98, v178                               // 0000000129AC: 0AC56562
	v_mul_f32_e32 v99, v99, v179                               // 0000000129B0: 0AC76763
	v_mul_f32_e64 v4, -v100, s6                                // 0000000129B4: D1050004 20000D64
	v_mul_f32_e64 v5, -v101, s6                                // 0000000129BC: D1050005 20000D65
	v_mul_f32_e64 v6, -v102, s6                                // 0000000129C4: D1050006 20000D66
	v_mul_f32_e64 v7, -v103, s6                                // 0000000129CC: D1050007 20000D67
	v_exp_f32_e32 v4, v4                                       // 0000000129D4: 7E084104
	v_exp_f32_e32 v5, v5                                       // 0000000129D8: 7E0A4105
	v_exp_f32_e32 v6, v6                                       // 0000000129DC: 7E0C4106
	v_exp_f32_e32 v7, v7                                       // 0000000129E0: 7E0E4107
	v_add_f32_e64 v4, v4, 1.0                                  // 0000000129E4: D1010004 0001E504
	v_add_f32_e64 v5, v5, 1.0                                  // 0000000129EC: D1010005 0001E505
	v_add_f32_e64 v6, v6, 1.0                                  // 0000000129F4: D1010006 0001E506
	v_add_f32_e64 v7, v7, 1.0                                  // 0000000129FC: D1010007 0001E507
	v_rcp_f32_e32 v4, v4                                       // 000000012A04: 7E084504
	v_rcp_f32_e32 v5, v5                                       // 000000012A08: 7E0A4505
	v_rcp_f32_e32 v6, v6                                       // 000000012A0C: 7E0C4506
	v_rcp_f32_e32 v7, v7                                       // 000000012A10: 7E0E4507
	v_mul_f32_e32 v100, v100, v4                               // 000000012A14: 0AC80964
	v_mul_f32_e32 v101, v101, v5                               // 000000012A18: 0ACA0B65
	v_mul_f32_e32 v102, v102, v6                               // 000000012A1C: 0ACC0D66
	v_mul_f32_e32 v103, v103, v7                               // 000000012A20: 0ACE0F67
	v_mul_f32_e32 v100, v100, v180                             // 000000012A24: 0AC96964
	v_mul_f32_e32 v101, v101, v181                             // 000000012A28: 0ACB6B65
	v_mul_f32_e32 v102, v102, v182                             // 000000012A2C: 0ACD6D66
	v_mul_f32_e32 v103, v103, v183                             // 000000012A30: 0ACF6F67
	v_mul_f32_e64 v4, -v104, s6                                // 000000012A34: D1050004 20000D68
	v_mul_f32_e64 v5, -v105, s6                                // 000000012A3C: D1050005 20000D69
	v_mul_f32_e64 v6, -v106, s6                                // 000000012A44: D1050006 20000D6A
	v_mul_f32_e64 v7, -v107, s6                                // 000000012A4C: D1050007 20000D6B
	v_exp_f32_e32 v4, v4                                       // 000000012A54: 7E084104
	v_exp_f32_e32 v5, v5                                       // 000000012A58: 7E0A4105
	v_exp_f32_e32 v6, v6                                       // 000000012A5C: 7E0C4106
	v_exp_f32_e32 v7, v7                                       // 000000012A60: 7E0E4107
	v_add_f32_e64 v4, v4, 1.0                                  // 000000012A64: D1010004 0001E504
	v_add_f32_e64 v5, v5, 1.0                                  // 000000012A6C: D1010005 0001E505
	v_add_f32_e64 v6, v6, 1.0                                  // 000000012A74: D1010006 0001E506
	v_add_f32_e64 v7, v7, 1.0                                  // 000000012A7C: D1010007 0001E507
	v_rcp_f32_e32 v4, v4                                       // 000000012A84: 7E084504
	v_rcp_f32_e32 v5, v5                                       // 000000012A88: 7E0A4505
	v_rcp_f32_e32 v6, v6                                       // 000000012A8C: 7E0C4506
	v_rcp_f32_e32 v7, v7                                       // 000000012A90: 7E0E4507
	v_mul_f32_e32 v104, v104, v4                               // 000000012A94: 0AD00968
	v_mul_f32_e32 v105, v105, v5                               // 000000012A98: 0AD20B69
	v_mul_f32_e32 v106, v106, v6                               // 000000012A9C: 0AD40D6A
	v_mul_f32_e32 v107, v107, v7                               // 000000012AA0: 0AD60F6B
	v_mul_f32_e32 v104, v104, v184                             // 000000012AA4: 0AD17168
	v_mul_f32_e32 v105, v105, v185                             // 000000012AA8: 0AD37369
	v_mul_f32_e32 v106, v106, v186                             // 000000012AAC: 0AD5756A
	v_mul_f32_e32 v107, v107, v187                             // 000000012AB0: 0AD7776B
	v_mul_f32_e64 v4, -v108, s6                                // 000000012AB4: D1050004 20000D6C
	v_mul_f32_e64 v5, -v109, s6                                // 000000012ABC: D1050005 20000D6D
	v_mul_f32_e64 v6, -v110, s6                                // 000000012AC4: D1050006 20000D6E
	v_mul_f32_e64 v7, -v111, s6                                // 000000012ACC: D1050007 20000D6F
	v_exp_f32_e32 v4, v4                                       // 000000012AD4: 7E084104
	v_exp_f32_e32 v5, v5                                       // 000000012AD8: 7E0A4105
	v_exp_f32_e32 v6, v6                                       // 000000012ADC: 7E0C4106
	v_exp_f32_e32 v7, v7                                       // 000000012AE0: 7E0E4107
	v_add_f32_e64 v4, v4, 1.0                                  // 000000012AE4: D1010004 0001E504
	v_add_f32_e64 v5, v5, 1.0                                  // 000000012AEC: D1010005 0001E505
	v_add_f32_e64 v6, v6, 1.0                                  // 000000012AF4: D1010006 0001E506
	v_add_f32_e64 v7, v7, 1.0                                  // 000000012AFC: D1010007 0001E507
	v_rcp_f32_e32 v4, v4                                       // 000000012B04: 7E084504
	v_rcp_f32_e32 v5, v5                                       // 000000012B08: 7E0A4505
	v_rcp_f32_e32 v6, v6                                       // 000000012B0C: 7E0C4506
	v_rcp_f32_e32 v7, v7                                       // 000000012B10: 7E0E4507
	v_mul_f32_e32 v108, v108, v4                               // 000000012B14: 0AD8096C
	v_mul_f32_e32 v109, v109, v5                               // 000000012B18: 0ADA0B6D
	v_mul_f32_e32 v110, v110, v6                               // 000000012B1C: 0ADC0D6E
	v_mul_f32_e32 v111, v111, v7                               // 000000012B20: 0ADE0F6F
	v_mul_f32_e32 v108, v108, v188                             // 000000012B24: 0AD9796C
	v_mul_f32_e32 v109, v109, v189                             // 000000012B28: 0ADB7B6D
	v_mul_f32_e32 v110, v110, v190                             // 000000012B2C: 0ADD7D6E
	v_mul_f32_e32 v111, v111, v191                             // 000000012B30: 0ADF7F6F
	v_mul_f32_e64 v4, -v112, s6                                // 000000012B34: D1050004 20000D70
	v_mul_f32_e64 v5, -v113, s6                                // 000000012B3C: D1050005 20000D71
	v_mul_f32_e64 v6, -v114, s6                                // 000000012B44: D1050006 20000D72
	v_mul_f32_e64 v7, -v115, s6                                // 000000012B4C: D1050007 20000D73
	v_exp_f32_e32 v4, v4                                       // 000000012B54: 7E084104
	v_exp_f32_e32 v5, v5                                       // 000000012B58: 7E0A4105
	v_exp_f32_e32 v6, v6                                       // 000000012B5C: 7E0C4106
	v_exp_f32_e32 v7, v7                                       // 000000012B60: 7E0E4107
	v_add_f32_e64 v4, v4, 1.0                                  // 000000012B64: D1010004 0001E504
	v_add_f32_e64 v5, v5, 1.0                                  // 000000012B6C: D1010005 0001E505
	v_add_f32_e64 v6, v6, 1.0                                  // 000000012B74: D1010006 0001E506
	v_add_f32_e64 v7, v7, 1.0                                  // 000000012B7C: D1010007 0001E507
	v_rcp_f32_e32 v4, v4                                       // 000000012B84: 7E084504
	v_rcp_f32_e32 v5, v5                                       // 000000012B88: 7E0A4505
	v_rcp_f32_e32 v6, v6                                       // 000000012B8C: 7E0C4506
	v_rcp_f32_e32 v7, v7                                       // 000000012B90: 7E0E4507
	v_mul_f32_e32 v112, v112, v4                               // 000000012B94: 0AE00970
	v_mul_f32_e32 v113, v113, v5                               // 000000012B98: 0AE20B71
	v_mul_f32_e32 v114, v114, v6                               // 000000012B9C: 0AE40D72
	v_mul_f32_e32 v115, v115, v7                               // 000000012BA0: 0AE60F73
	v_mul_f32_e32 v112, v112, v192                             // 000000012BA4: 0AE18170
	v_mul_f32_e32 v113, v113, v193                             // 000000012BA8: 0AE38371
	v_mul_f32_e32 v114, v114, v194                             // 000000012BAC: 0AE58572
	v_mul_f32_e32 v115, v115, v195                             // 000000012BB0: 0AE78773
	v_mul_f32_e64 v4, -v116, s6                                // 000000012BB4: D1050004 20000D74
	v_mul_f32_e64 v5, -v117, s6                                // 000000012BBC: D1050005 20000D75
	v_mul_f32_e64 v6, -v118, s6                                // 000000012BC4: D1050006 20000D76
	v_mul_f32_e64 v7, -v119, s6                                // 000000012BCC: D1050007 20000D77
	v_exp_f32_e32 v4, v4                                       // 000000012BD4: 7E084104
	v_exp_f32_e32 v5, v5                                       // 000000012BD8: 7E0A4105
	v_exp_f32_e32 v6, v6                                       // 000000012BDC: 7E0C4106
	v_exp_f32_e32 v7, v7                                       // 000000012BE0: 7E0E4107
	v_add_f32_e64 v4, v4, 1.0                                  // 000000012BE4: D1010004 0001E504
	v_add_f32_e64 v5, v5, 1.0                                  // 000000012BEC: D1010005 0001E505
	v_add_f32_e64 v6, v6, 1.0                                  // 000000012BF4: D1010006 0001E506
	v_add_f32_e64 v7, v7, 1.0                                  // 000000012BFC: D1010007 0001E507
	v_rcp_f32_e32 v4, v4                                       // 000000012C04: 7E084504
	v_rcp_f32_e32 v5, v5                                       // 000000012C08: 7E0A4505
	v_rcp_f32_e32 v6, v6                                       // 000000012C0C: 7E0C4506
	v_rcp_f32_e32 v7, v7                                       // 000000012C10: 7E0E4507
	v_mul_f32_e32 v116, v116, v4                               // 000000012C14: 0AE80974
	v_mul_f32_e32 v117, v117, v5                               // 000000012C18: 0AEA0B75
	v_mul_f32_e32 v118, v118, v6                               // 000000012C1C: 0AEC0D76
	v_mul_f32_e32 v119, v119, v7                               // 000000012C20: 0AEE0F77
	v_mul_f32_e32 v116, v116, v196                             // 000000012C24: 0AE98974
	v_mul_f32_e32 v117, v117, v197                             // 000000012C28: 0AEB8B75
	v_mul_f32_e32 v118, v118, v198                             // 000000012C2C: 0AED8D76
	v_mul_f32_e32 v119, v119, v199                             // 000000012C30: 0AEF8F77
	v_mul_f32_e64 v4, -v120, s6                                // 000000012C34: D1050004 20000D78
	v_mul_f32_e64 v5, -v121, s6                                // 000000012C3C: D1050005 20000D79
	v_mul_f32_e64 v6, -v122, s6                                // 000000012C44: D1050006 20000D7A
	v_mul_f32_e64 v7, -v123, s6                                // 000000012C4C: D1050007 20000D7B
	v_exp_f32_e32 v4, v4                                       // 000000012C54: 7E084104
	v_exp_f32_e32 v5, v5                                       // 000000012C58: 7E0A4105
	v_exp_f32_e32 v6, v6                                       // 000000012C5C: 7E0C4106
	v_exp_f32_e32 v7, v7                                       // 000000012C60: 7E0E4107
	v_add_f32_e64 v4, v4, 1.0                                  // 000000012C64: D1010004 0001E504
	v_add_f32_e64 v5, v5, 1.0                                  // 000000012C6C: D1010005 0001E505
	v_add_f32_e64 v6, v6, 1.0                                  // 000000012C74: D1010006 0001E506
	v_add_f32_e64 v7, v7, 1.0                                  // 000000012C7C: D1010007 0001E507
	v_rcp_f32_e32 v4, v4                                       // 000000012C84: 7E084504
	v_rcp_f32_e32 v5, v5                                       // 000000012C88: 7E0A4505
	v_rcp_f32_e32 v6, v6                                       // 000000012C8C: 7E0C4506
	v_rcp_f32_e32 v7, v7                                       // 000000012C90: 7E0E4507
	v_mul_f32_e32 v120, v120, v4                               // 000000012C94: 0AF00978
	v_mul_f32_e32 v121, v121, v5                               // 000000012C98: 0AF20B79
	v_mul_f32_e32 v122, v122, v6                               // 000000012C9C: 0AF40D7A
	v_mul_f32_e32 v123, v123, v7                               // 000000012CA0: 0AF60F7B
	v_mul_f32_e32 v120, v120, v200                             // 000000012CA4: 0AF19178
	v_mul_f32_e32 v121, v121, v201                             // 000000012CA8: 0AF39379
	v_mul_f32_e32 v122, v122, v202                             // 000000012CAC: 0AF5957A
	v_mul_f32_e32 v123, v123, v203                             // 000000012CB0: 0AF7977B
	v_mul_f32_e64 v4, -v124, s6                                // 000000012CB4: D1050004 20000D7C
	v_mul_f32_e64 v5, -v125, s6                                // 000000012CBC: D1050005 20000D7D
	v_mul_f32_e64 v6, -v126, s6                                // 000000012CC4: D1050006 20000D7E
	v_mul_f32_e64 v7, -v127, s6                                // 000000012CCC: D1050007 20000D7F
	v_exp_f32_e32 v4, v4                                       // 000000012CD4: 7E084104
	v_exp_f32_e32 v5, v5                                       // 000000012CD8: 7E0A4105
	v_exp_f32_e32 v6, v6                                       // 000000012CDC: 7E0C4106
	v_exp_f32_e32 v7, v7                                       // 000000012CE0: 7E0E4107
	v_add_f32_e64 v4, v4, 1.0                                  // 000000012CE4: D1010004 0001E504
	v_add_f32_e64 v5, v5, 1.0                                  // 000000012CEC: D1010005 0001E505
	v_add_f32_e64 v6, v6, 1.0                                  // 000000012CF4: D1010006 0001E506
	v_add_f32_e64 v7, v7, 1.0                                  // 000000012CFC: D1010007 0001E507
	v_rcp_f32_e32 v4, v4                                       // 000000012D04: 7E084504
	v_rcp_f32_e32 v5, v5                                       // 000000012D08: 7E0A4505
	v_rcp_f32_e32 v6, v6                                       // 000000012D0C: 7E0C4506
	v_rcp_f32_e32 v7, v7                                       // 000000012D10: 7E0E4507
	v_mul_f32_e32 v124, v124, v4                               // 000000012D14: 0AF8097C
	v_mul_f32_e32 v125, v125, v5                               // 000000012D18: 0AFA0B7D
	v_mul_f32_e32 v126, v126, v6                               // 000000012D1C: 0AFC0D7E
	v_mul_f32_e32 v127, v127, v7                               // 000000012D20: 0AFE0F7F
	v_mul_f32_e32 v124, v124, v204                             // 000000012D24: 0AF9997C
	v_mul_f32_e32 v125, v125, v205                             // 000000012D28: 0AFB9B7D
	v_mul_f32_e32 v126, v126, v206                             // 000000012D2C: 0AFD9D7E
	v_mul_f32_e32 v127, v127, v207                             // 000000012D30: 0AFF9F7F
	v_mul_f32_e64 v4, -v128, s6                                // 000000012D34: D1050004 20000D80
	v_mul_f32_e64 v5, -v129, s6                                // 000000012D3C: D1050005 20000D81
	v_mul_f32_e64 v6, -v130, s6                                // 000000012D44: D1050006 20000D82
	v_mul_f32_e64 v7, -v131, s6                                // 000000012D4C: D1050007 20000D83
	v_exp_f32_e32 v4, v4                                       // 000000012D54: 7E084104
	v_exp_f32_e32 v5, v5                                       // 000000012D58: 7E0A4105
	v_exp_f32_e32 v6, v6                                       // 000000012D5C: 7E0C4106
	v_exp_f32_e32 v7, v7                                       // 000000012D60: 7E0E4107
	v_add_f32_e64 v4, v4, 1.0                                  // 000000012D64: D1010004 0001E504
	v_add_f32_e64 v5, v5, 1.0                                  // 000000012D6C: D1010005 0001E505
	v_add_f32_e64 v6, v6, 1.0                                  // 000000012D74: D1010006 0001E506
	v_add_f32_e64 v7, v7, 1.0                                  // 000000012D7C: D1010007 0001E507
	v_rcp_f32_e32 v4, v4                                       // 000000012D84: 7E084504
	v_rcp_f32_e32 v5, v5                                       // 000000012D88: 7E0A4505
	v_rcp_f32_e32 v6, v6                                       // 000000012D8C: 7E0C4506
	v_rcp_f32_e32 v7, v7                                       // 000000012D90: 7E0E4507
	v_mul_f32_e32 v128, v128, v4                               // 000000012D94: 0B000980
	v_mul_f32_e32 v129, v129, v5                               // 000000012D98: 0B020B81
	v_mul_f32_e32 v130, v130, v6                               // 000000012D9C: 0B040D82
	v_mul_f32_e32 v131, v131, v7                               // 000000012DA0: 0B060F83
	v_mul_f32_e32 v128, v128, v208                             // 000000012DA4: 0B01A180
	v_mul_f32_e32 v129, v129, v209                             // 000000012DA8: 0B03A381
	v_mul_f32_e32 v130, v130, v210                             // 000000012DAC: 0B05A582
	v_mul_f32_e32 v131, v131, v211                             // 000000012DB0: 0B07A783
	v_mul_f32_e64 v4, -v132, s6                                // 000000012DB4: D1050004 20000D84
	v_mul_f32_e64 v5, -v133, s6                                // 000000012DBC: D1050005 20000D85
	v_mul_f32_e64 v6, -v134, s6                                // 000000012DC4: D1050006 20000D86
	v_mul_f32_e64 v7, -v135, s6                                // 000000012DCC: D1050007 20000D87
	v_exp_f32_e32 v4, v4                                       // 000000012DD4: 7E084104
	v_exp_f32_e32 v5, v5                                       // 000000012DD8: 7E0A4105
	v_exp_f32_e32 v6, v6                                       // 000000012DDC: 7E0C4106
	v_exp_f32_e32 v7, v7                                       // 000000012DE0: 7E0E4107
	v_add_f32_e64 v4, v4, 1.0                                  // 000000012DE4: D1010004 0001E504
	v_add_f32_e64 v5, v5, 1.0                                  // 000000012DEC: D1010005 0001E505
	v_add_f32_e64 v6, v6, 1.0                                  // 000000012DF4: D1010006 0001E506
	v_add_f32_e64 v7, v7, 1.0                                  // 000000012DFC: D1010007 0001E507
	v_rcp_f32_e32 v4, v4                                       // 000000012E04: 7E084504
	v_rcp_f32_e32 v5, v5                                       // 000000012E08: 7E0A4505
	v_rcp_f32_e32 v6, v6                                       // 000000012E0C: 7E0C4506
	v_rcp_f32_e32 v7, v7                                       // 000000012E10: 7E0E4507
	v_mul_f32_e32 v132, v132, v4                               // 000000012E14: 0B080984
	v_mul_f32_e32 v133, v133, v5                               // 000000012E18: 0B0A0B85
	v_mul_f32_e32 v134, v134, v6                               // 000000012E1C: 0B0C0D86
	v_mul_f32_e32 v135, v135, v7                               // 000000012E20: 0B0E0F87
	v_mul_f32_e32 v132, v132, v212                             // 000000012E24: 0B09A984
	v_mul_f32_e32 v133, v133, v213                             // 000000012E28: 0B0BAB85
	v_mul_f32_e32 v134, v134, v214                             // 000000012E2C: 0B0DAD86
	v_mul_f32_e32 v135, v135, v215                             // 000000012E30: 0B0FAF87
	v_mul_f32_e64 v4, -v136, s6                                // 000000012E34: D1050004 20000D88
	v_mul_f32_e64 v5, -v137, s6                                // 000000012E3C: D1050005 20000D89
	v_mul_f32_e64 v6, -v138, s6                                // 000000012E44: D1050006 20000D8A
	v_mul_f32_e64 v7, -v139, s6                                // 000000012E4C: D1050007 20000D8B
	v_exp_f32_e32 v4, v4                                       // 000000012E54: 7E084104
	v_exp_f32_e32 v5, v5                                       // 000000012E58: 7E0A4105
	v_exp_f32_e32 v6, v6                                       // 000000012E5C: 7E0C4106
	v_exp_f32_e32 v7, v7                                       // 000000012E60: 7E0E4107
	v_add_f32_e64 v4, v4, 1.0                                  // 000000012E64: D1010004 0001E504
	v_add_f32_e64 v5, v5, 1.0                                  // 000000012E6C: D1010005 0001E505
	v_add_f32_e64 v6, v6, 1.0                                  // 000000012E74: D1010006 0001E506
	v_add_f32_e64 v7, v7, 1.0                                  // 000000012E7C: D1010007 0001E507
	v_rcp_f32_e32 v4, v4                                       // 000000012E84: 7E084504
	v_rcp_f32_e32 v5, v5                                       // 000000012E88: 7E0A4505
	v_rcp_f32_e32 v6, v6                                       // 000000012E8C: 7E0C4506
	v_rcp_f32_e32 v7, v7                                       // 000000012E90: 7E0E4507
	v_mul_f32_e32 v136, v136, v4                               // 000000012E94: 0B100988
	v_mul_f32_e32 v137, v137, v5                               // 000000012E98: 0B120B89
	v_mul_f32_e32 v138, v138, v6                               // 000000012E9C: 0B140D8A
	v_mul_f32_e32 v139, v139, v7                               // 000000012EA0: 0B160F8B
	v_mul_f32_e32 v136, v136, v216                             // 000000012EA4: 0B11B188
	v_mul_f32_e32 v137, v137, v217                             // 000000012EA8: 0B13B389
	v_mul_f32_e32 v138, v138, v218                             // 000000012EAC: 0B15B58A
	v_mul_f32_e32 v139, v139, v219                             // 000000012EB0: 0B17B78B
	v_mul_f32_e64 v4, -v140, s6                                // 000000012EB4: D1050004 20000D8C
	v_mul_f32_e64 v5, -v141, s6                                // 000000012EBC: D1050005 20000D8D
	v_mul_f32_e64 v6, -v142, s6                                // 000000012EC4: D1050006 20000D8E
	v_mul_f32_e64 v7, -v143, s6                                // 000000012ECC: D1050007 20000D8F
	v_exp_f32_e32 v4, v4                                       // 000000012ED4: 7E084104
	v_exp_f32_e32 v5, v5                                       // 000000012ED8: 7E0A4105
	v_exp_f32_e32 v6, v6                                       // 000000012EDC: 7E0C4106
	v_exp_f32_e32 v7, v7                                       // 000000012EE0: 7E0E4107
	v_add_f32_e64 v4, v4, 1.0                                  // 000000012EE4: D1010004 0001E504
	v_add_f32_e64 v5, v5, 1.0                                  // 000000012EEC: D1010005 0001E505
	v_add_f32_e64 v6, v6, 1.0                                  // 000000012EF4: D1010006 0001E506
	v_add_f32_e64 v7, v7, 1.0                                  // 000000012EFC: D1010007 0001E507
	v_rcp_f32_e32 v4, v4                                       // 000000012F04: 7E084504
	v_rcp_f32_e32 v5, v5                                       // 000000012F08: 7E0A4505
	v_rcp_f32_e32 v6, v6                                       // 000000012F0C: 7E0C4506
	v_rcp_f32_e32 v7, v7                                       // 000000012F10: 7E0E4507
	v_mul_f32_e32 v140, v140, v4                               // 000000012F14: 0B18098C
	v_mul_f32_e32 v141, v141, v5                               // 000000012F18: 0B1A0B8D
	v_mul_f32_e32 v142, v142, v6                               // 000000012F1C: 0B1C0D8E
	v_mul_f32_e32 v143, v143, v7                               // 000000012F20: 0B1E0F8F
	v_mul_f32_e32 v140, v140, v220                             // 000000012F24: 0B19B98C
	v_mul_f32_e32 v141, v141, v221                             // 000000012F28: 0B1BBB8D
	v_mul_f32_e32 v142, v142, v222                             // 000000012F2C: 0B1DBD8E
	v_mul_f32_e32 v143, v143, v223                             // 000000012F30: 0B1FBF8F

0000000000012f34 <label_4150>:
	s_cmp_eq_u32 s7, 0                                         // 000000012F34: BF068007
	s_cbranch_scc0 label_4163                                  // 000000012F38: BF840011
	v_and_b32_e32 v4, 15, v0                                   // 000000012F3C: 2608008F
	v_lshlrev_b32_e32 v4, 2, v4                                // 000000012F40: 24080882
	buffer_load_dword v30, v4, s[12:15], 0 offen               // 000000012F44: E0501000 80031E04
	v_add_u32_e32 v4, 64, v4                                   // 000000012F4C: 680808C0
	buffer_load_dword v31, v4, s[12:15], 0 offen               // 000000012F50: E0501000 80031F04
	v_add_u32_e32 v4, 64, v4                                   // 000000012F58: 680808C0
	buffer_load_dword v32, v4, s[12:15], 0 offen               // 000000012F5C: E0501000 80032004
	v_add_u32_e32 v4, 64, v4                                   // 000000012F64: 680808C0
	buffer_load_dword v33, v4, s[12:15], 0 offen               // 000000012F68: E0501000 80032104
	v_add_u32_e32 v4, 64, v4                                   // 000000012F70: 680808C0
	buffer_load_dword v34, v4, s[12:15], 0 offen               // 000000012F74: E0501000 80032204
	v_add_u32_e32 v4, 64, v4                                   // 000000012F7C: 680808C0

0000000000012f80 <label_4163>:
	v_lshlrev_b32_e32 v4, 2, v0                                // 000000012F80: 24080082
	s_mul_i32 s60, 0x100, s7                                   // 000000012F84: 923C07FF 00000100
	v_add_u32_e32 v154, s60, v4                                // 000000012F8C: 6934083C
	v_and_b32_e32 v4, 15, v0                                   // 000000012F90: 2608008F
	v_lshlrev_b32_e32 v155, 2, v4                              // 000000012F94: 25360882
	s_waitcnt lgkmcnt(0)                                       // 000000012F98: BF8CC07F
	s_barrier                                                  // 000000012F9C: BF8A0000
	v_mov_b32_e32 v144, 0x358637bd                             // 000000012FA0: 7F2002FF 358637BD
	v_max3_f32 v144, |v64|, |v65|, v144                        // 000000012FA8: D1D30390 06428340
	v_max3_f32 v144, |v66|, |v67|, v144                        // 000000012FB0: D1D30390 06428742
	v_max3_f32 v144, |v84|, |v85|, v144                        // 000000012FB8: D1D30390 0642AB54
	v_max3_f32 v144, |v86|, |v87|, v144                        // 000000012FC0: D1D30390 0642AF56
	ds_write_b32 v154, v144                                    // 000000012FC8: D81A0000 0000909A
	s_waitcnt lgkmcnt(0)                                       // 000000012FD0: BF8CC07F
	s_barrier                                                  // 000000012FD4: BF8A0000
	ds_read_b32 v4, v155                                       // 000000012FD8: D86C0000 0400009B
	ds_read_b32 v5, v155 offset:64                             // 000000012FE0: D86C0040 0500009B
	ds_read_b32 v6, v155 offset:128                            // 000000012FE8: D86C0080 0600009B
	ds_read_b32 v7, v155 offset:192                            // 000000012FF0: D86C00C0 0700009B
	ds_read_b32 v8, v155 offset:256                            // 000000012FF8: D86C0100 0800009B
	ds_read_b32 v9, v155 offset:320                            // 000000013000: D86C0140 0900009B
	ds_read_b32 v10, v155 offset:384                           // 000000013008: D86C0180 0A00009B
	ds_read_b32 v11, v155 offset:448                           // 000000013010: D86C01C0 0B00009B
	ds_read_b32 v12, v155 offset:512                           // 000000013018: D86C0200 0C00009B
	ds_read_b32 v13, v155 offset:576                           // 000000013020: D86C0240 0D00009B
	ds_read_b32 v14, v155 offset:640                           // 000000013028: D86C0280 0E00009B
	ds_read_b32 v15, v155 offset:704                           // 000000013030: D86C02C0 0F00009B
	ds_read_b32 v16, v155 offset:768                           // 000000013038: D86C0300 1000009B
	ds_read_b32 v17, v155 offset:832                           // 000000013040: D86C0340 1100009B
	ds_read_b32 v18, v155 offset:896                           // 000000013048: D86C0380 1200009B
	ds_read_b32 v19, v155 offset:960                           // 000000013050: D86C03C0 1300009B
	s_waitcnt lgkmcnt(0)                                       // 000000013058: BF8CC07F
	s_barrier                                                  // 00000001305C: BF8A0000
	v_max3_f32 v144, |v4|, |v5|, v144                          // 000000013060: D1D30390 06420B04
	v_max3_f32 v144, |v6|, |v7|, v144                          // 000000013068: D1D30390 06420F06
	v_max3_f32 v144, |v8|, |v9|, v144                          // 000000013070: D1D30390 06421308
	v_max3_f32 v144, |v10|, |v11|, v144                        // 000000013078: D1D30390 0642170A
	v_max3_f32 v144, |v12|, |v13|, v144                        // 000000013080: D1D30390 06421B0C
	v_max3_f32 v144, |v14|, |v15|, v144                        // 000000013088: D1D30390 06421F0E
	v_max3_f32 v144, |v16|, |v17|, v144                        // 000000013090: D1D30390 06422310
	v_max3_f32 v144, |v18|, |v19|, v144                        // 000000013098: D1D30390 06422712
	v_rcp_f32_e32 v144, v144                                   // 0000000130A0: 7F204590
	v_mov_b32_e32 v4, 0x43700000                               // 0000000130A4: 7E0802FF 43700000
	v_mul_f32_e32 v144, v4, v144                               // 0000000130AC: 0B212104
	v_mov_b32_e32 v4, v144                                     // 0000000130B0: 7E080390
	v_mov_b32_e32 v5, v4                                       // 0000000130B4: 7E0A0304
	v_pk_mul_f32 v[64:65], v[4:5], v[64:65]                    // 0000000130B8: D3B14040 18028104
	v_pk_mul_f32 v[66:67], v[4:5], v[66:67]                    // 0000000130C0: D3B14042 18028504
	v_cvt_pk_fp8_f32 v64, v64, v65                             // 0000000130C8: D2A20040 00028340
	v_cvt_pk_fp8_f32 v64, v66, v67 op_sel:[0,0,1]              // 0000000130D0: D2A24040 00028742
	v_pk_mul_f32 v[84:85], v[4:5], v[84:85]                    // 0000000130D8: D3B14054 1802A904
	v_pk_mul_f32 v[86:87], v[4:5], v[86:87]                    // 0000000130E0: D3B14056 1802AD04
	v_cvt_pk_fp8_f32 v84, v84, v85                             // 0000000130E8: D2A20054 0002AB54
	v_cvt_pk_fp8_f32 v84, v86, v87 op_sel:[0,0,1]              // 0000000130F0: D2A24054 0002AF56
	v_rcp_f32_e32 v144, v144                                   // 0000000130F8: 7F204590
	v_mov_b32_e32 v149, 0x358637bd                             // 0000000130FC: 7F2A02FF 358637BD
	v_max3_f32 v149, |v104|, |v105|, v149                      // 000000013104: D1D30395 0656D368
	v_max3_f32 v149, |v106|, |v107|, v149                      // 00000001310C: D1D30395 0656D76A
	v_max3_f32 v149, |v124|, |v125|, v149                      // 000000013114: D1D30395 0656FB7C
	v_max3_f32 v149, |v126|, |v127|, v149                      // 00000001311C: D1D30395 0656FF7E
	ds_write_b32 v154, v149                                    // 000000013124: D81A0000 0000959A
	s_waitcnt lgkmcnt(0)                                       // 00000001312C: BF8CC07F
	s_barrier                                                  // 000000013130: BF8A0000
	ds_read_b32 v4, v155                                       // 000000013134: D86C0000 0400009B
	ds_read_b32 v5, v155 offset:64                             // 00000001313C: D86C0040 0500009B
	ds_read_b32 v6, v155 offset:128                            // 000000013144: D86C0080 0600009B
	ds_read_b32 v7, v155 offset:192                            // 00000001314C: D86C00C0 0700009B
	ds_read_b32 v8, v155 offset:256                            // 000000013154: D86C0100 0800009B
	ds_read_b32 v9, v155 offset:320                            // 00000001315C: D86C0140 0900009B
	ds_read_b32 v10, v155 offset:384                           // 000000013164: D86C0180 0A00009B
	ds_read_b32 v11, v155 offset:448                           // 00000001316C: D86C01C0 0B00009B
	ds_read_b32 v12, v155 offset:512                           // 000000013174: D86C0200 0C00009B
	ds_read_b32 v13, v155 offset:576                           // 00000001317C: D86C0240 0D00009B
	ds_read_b32 v14, v155 offset:640                           // 000000013184: D86C0280 0E00009B
	ds_read_b32 v15, v155 offset:704                           // 00000001318C: D86C02C0 0F00009B
	ds_read_b32 v16, v155 offset:768                           // 000000013194: D86C0300 1000009B
	ds_read_b32 v17, v155 offset:832                           // 00000001319C: D86C0340 1100009B
	ds_read_b32 v18, v155 offset:896                           // 0000000131A4: D86C0380 1200009B
	ds_read_b32 v19, v155 offset:960                           // 0000000131AC: D86C03C0 1300009B
	s_waitcnt lgkmcnt(0)                                       // 0000000131B4: BF8CC07F
	s_barrier                                                  // 0000000131B8: BF8A0000
	v_max3_f32 v149, |v4|, |v5|, v149                          // 0000000131BC: D1D30395 06560B04
	v_max3_f32 v149, |v6|, |v7|, v149                          // 0000000131C4: D1D30395 06560F06
	v_max3_f32 v149, |v8|, |v9|, v149                          // 0000000131CC: D1D30395 06561308
	v_max3_f32 v149, |v10|, |v11|, v149                        // 0000000131D4: D1D30395 0656170A
	v_max3_f32 v149, |v12|, |v13|, v149                        // 0000000131DC: D1D30395 06561B0C
	v_max3_f32 v149, |v14|, |v15|, v149                        // 0000000131E4: D1D30395 06561F0E
	v_max3_f32 v149, |v16|, |v17|, v149                        // 0000000131EC: D1D30395 06562310
	v_max3_f32 v149, |v18|, |v19|, v149                        // 0000000131F4: D1D30395 06562712
	v_rcp_f32_e32 v149, v149                                   // 0000000131FC: 7F2A4595
	v_mov_b32_e32 v4, 0x43700000                               // 000000013200: 7E0802FF 43700000
	v_mul_f32_e32 v149, v4, v149                               // 000000013208: 0B2B2B04
	v_mov_b32_e32 v4, v149                                     // 00000001320C: 7E080395
	v_mov_b32_e32 v5, v4                                       // 000000013210: 7E0A0304
	v_pk_mul_f32 v[104:105], v[4:5], v[104:105]                // 000000013214: D3B14068 1802D104
	v_pk_mul_f32 v[106:107], v[4:5], v[106:107]                // 00000001321C: D3B1406A 1802D504
	v_cvt_pk_fp8_f32 v104, v104, v105                          // 000000013224: D2A20068 0002D368
	v_cvt_pk_fp8_f32 v104, v106, v107 op_sel:[0,0,1]           // 00000001322C: D2A24068 0002D76A
	v_pk_mul_f32 v[124:125], v[4:5], v[124:125]                // 000000013234: D3B1407C 1802F904
	v_pk_mul_f32 v[126:127], v[4:5], v[126:127]                // 00000001323C: D3B1407E 1802FD04
	v_cvt_pk_fp8_f32 v124, v124, v125                          // 000000013244: D2A2007C 0002FB7C
	v_cvt_pk_fp8_f32 v124, v126, v127 op_sel:[0,0,1]           // 00000001324C: D2A2407C 0002FF7E
	v_rcp_f32_e32 v149, v149                                   // 000000013254: 7F2A4595
	v_mov_b32_e32 v145, 0x358637bd                             // 000000013258: 7F2202FF 358637BD
	v_max3_f32 v145, |v68|, |v69|, v145                        // 000000013260: D1D30391 06468B44
	v_max3_f32 v145, |v70|, |v71|, v145                        // 000000013268: D1D30391 06468F46
	v_max3_f32 v145, |v88|, |v89|, v145                        // 000000013270: D1D30391 0646B358
	v_max3_f32 v145, |v90|, |v91|, v145                        // 000000013278: D1D30391 0646B75A
	ds_write_b32 v154, v145                                    // 000000013280: D81A0000 0000919A
	s_waitcnt lgkmcnt(0)                                       // 000000013288: BF8CC07F
	s_barrier                                                  // 00000001328C: BF8A0000
	ds_read_b32 v4, v155                                       // 000000013290: D86C0000 0400009B
	ds_read_b32 v5, v155 offset:64                             // 000000013298: D86C0040 0500009B
	ds_read_b32 v6, v155 offset:128                            // 0000000132A0: D86C0080 0600009B
	ds_read_b32 v7, v155 offset:192                            // 0000000132A8: D86C00C0 0700009B
	ds_read_b32 v8, v155 offset:256                            // 0000000132B0: D86C0100 0800009B
	ds_read_b32 v9, v155 offset:320                            // 0000000132B8: D86C0140 0900009B
	ds_read_b32 v10, v155 offset:384                           // 0000000132C0: D86C0180 0A00009B
	ds_read_b32 v11, v155 offset:448                           // 0000000132C8: D86C01C0 0B00009B
	ds_read_b32 v12, v155 offset:512                           // 0000000132D0: D86C0200 0C00009B
	ds_read_b32 v13, v155 offset:576                           // 0000000132D8: D86C0240 0D00009B
	ds_read_b32 v14, v155 offset:640                           // 0000000132E0: D86C0280 0E00009B
	ds_read_b32 v15, v155 offset:704                           // 0000000132E8: D86C02C0 0F00009B
	ds_read_b32 v16, v155 offset:768                           // 0000000132F0: D86C0300 1000009B
	ds_read_b32 v17, v155 offset:832                           // 0000000132F8: D86C0340 1100009B
	ds_read_b32 v18, v155 offset:896                           // 000000013300: D86C0380 1200009B
	ds_read_b32 v19, v155 offset:960                           // 000000013308: D86C03C0 1300009B
	s_waitcnt lgkmcnt(0)                                       // 000000013310: BF8CC07F
	s_barrier                                                  // 000000013314: BF8A0000
	v_max3_f32 v145, |v4|, |v5|, v145                          // 000000013318: D1D30391 06460B04
	v_max3_f32 v145, |v6|, |v7|, v145                          // 000000013320: D1D30391 06460F06
	v_max3_f32 v145, |v8|, |v9|, v145                          // 000000013328: D1D30391 06461308
	v_max3_f32 v145, |v10|, |v11|, v145                        // 000000013330: D1D30391 0646170A
	v_max3_f32 v145, |v12|, |v13|, v145                        // 000000013338: D1D30391 06461B0C
	v_max3_f32 v145, |v14|, |v15|, v145                        // 000000013340: D1D30391 06461F0E
	v_max3_f32 v145, |v16|, |v17|, v145                        // 000000013348: D1D30391 06462310
	v_max3_f32 v145, |v18|, |v19|, v145                        // 000000013350: D1D30391 06462712
	v_rcp_f32_e32 v145, v145                                   // 000000013358: 7F224591
	v_mov_b32_e32 v4, 0x43700000                               // 00000001335C: 7E0802FF 43700000
	v_mul_f32_e32 v145, v4, v145                               // 000000013364: 0B232304
	v_mov_b32_e32 v4, v145                                     // 000000013368: 7E080391
	v_mov_b32_e32 v5, v4                                       // 00000001336C: 7E0A0304
	v_pk_mul_f32 v[68:69], v[4:5], v[68:69]                    // 000000013370: D3B14044 18028904
	v_pk_mul_f32 v[70:71], v[4:5], v[70:71]                    // 000000013378: D3B14046 18028D04
	v_cvt_pk_fp8_f32 v68, v68, v69                             // 000000013380: D2A20044 00028B44
	v_cvt_pk_fp8_f32 v68, v70, v71 op_sel:[0,0,1]              // 000000013388: D2A24044 00028F46
	v_pk_mul_f32 v[88:89], v[4:5], v[88:89]                    // 000000013390: D3B14058 1802B104
	v_pk_mul_f32 v[90:91], v[4:5], v[90:91]                    // 000000013398: D3B1405A 1802B504
	v_cvt_pk_fp8_f32 v88, v88, v89                             // 0000000133A0: D2A20058 0002B358
	v_cvt_pk_fp8_f32 v88, v90, v91 op_sel:[0,0,1]              // 0000000133A8: D2A24058 0002B75A
	v_rcp_f32_e32 v145, v145                                   // 0000000133B0: 7F224591
	v_mov_b32_e32 v150, 0x358637bd                             // 0000000133B4: 7F2C02FF 358637BD
	v_max3_f32 v150, |v108|, |v109|, v150                      // 0000000133BC: D1D30396 065ADB6C
	v_max3_f32 v150, |v110|, |v111|, v150                      // 0000000133C4: D1D30396 065ADF6E
	v_max3_f32 v150, |v128|, |v129|, v150                      // 0000000133CC: D1D30396 065B0380
	v_max3_f32 v150, |v130|, |v131|, v150                      // 0000000133D4: D1D30396 065B0782
	ds_write_b32 v154, v150                                    // 0000000133DC: D81A0000 0000969A
	s_waitcnt lgkmcnt(0)                                       // 0000000133E4: BF8CC07F
	s_barrier                                                  // 0000000133E8: BF8A0000
	ds_read_b32 v4, v155                                       // 0000000133EC: D86C0000 0400009B
	ds_read_b32 v5, v155 offset:64                             // 0000000133F4: D86C0040 0500009B
	ds_read_b32 v6, v155 offset:128                            // 0000000133FC: D86C0080 0600009B
	ds_read_b32 v7, v155 offset:192                            // 000000013404: D86C00C0 0700009B
	ds_read_b32 v8, v155 offset:256                            // 00000001340C: D86C0100 0800009B
	ds_read_b32 v9, v155 offset:320                            // 000000013414: D86C0140 0900009B
	ds_read_b32 v10, v155 offset:384                           // 00000001341C: D86C0180 0A00009B
	ds_read_b32 v11, v155 offset:448                           // 000000013424: D86C01C0 0B00009B
	ds_read_b32 v12, v155 offset:512                           // 00000001342C: D86C0200 0C00009B
	ds_read_b32 v13, v155 offset:576                           // 000000013434: D86C0240 0D00009B
	ds_read_b32 v14, v155 offset:640                           // 00000001343C: D86C0280 0E00009B
	ds_read_b32 v15, v155 offset:704                           // 000000013444: D86C02C0 0F00009B
	ds_read_b32 v16, v155 offset:768                           // 00000001344C: D86C0300 1000009B
	ds_read_b32 v17, v155 offset:832                           // 000000013454: D86C0340 1100009B
	ds_read_b32 v18, v155 offset:896                           // 00000001345C: D86C0380 1200009B
	ds_read_b32 v19, v155 offset:960                           // 000000013464: D86C03C0 1300009B
	s_waitcnt lgkmcnt(0)                                       // 00000001346C: BF8CC07F
	s_barrier                                                  // 000000013470: BF8A0000
	v_max3_f32 v150, |v4|, |v5|, v150                          // 000000013474: D1D30396 065A0B04
	v_max3_f32 v150, |v6|, |v7|, v150                          // 00000001347C: D1D30396 065A0F06
	v_max3_f32 v150, |v8|, |v9|, v150                          // 000000013484: D1D30396 065A1308
	v_max3_f32 v150, |v10|, |v11|, v150                        // 00000001348C: D1D30396 065A170A
	v_max3_f32 v150, |v12|, |v13|, v150                        // 000000013494: D1D30396 065A1B0C
	v_max3_f32 v150, |v14|, |v15|, v150                        // 00000001349C: D1D30396 065A1F0E
	v_max3_f32 v150, |v16|, |v17|, v150                        // 0000000134A4: D1D30396 065A2310
	v_max3_f32 v150, |v18|, |v19|, v150                        // 0000000134AC: D1D30396 065A2712
	v_rcp_f32_e32 v150, v150                                   // 0000000134B4: 7F2C4596
	v_mov_b32_e32 v4, 0x43700000                               // 0000000134B8: 7E0802FF 43700000
	v_mul_f32_e32 v150, v4, v150                               // 0000000134C0: 0B2D2D04
	v_mov_b32_e32 v4, v150                                     // 0000000134C4: 7E080396
	v_mov_b32_e32 v5, v4                                       // 0000000134C8: 7E0A0304
	v_pk_mul_f32 v[108:109], v[4:5], v[108:109]                // 0000000134CC: D3B1406C 1802D904
	v_pk_mul_f32 v[110:111], v[4:5], v[110:111]                // 0000000134D4: D3B1406E 1802DD04
	v_cvt_pk_fp8_f32 v108, v108, v109                          // 0000000134DC: D2A2006C 0002DB6C
	v_cvt_pk_fp8_f32 v108, v110, v111 op_sel:[0,0,1]           // 0000000134E4: D2A2406C 0002DF6E
	v_pk_mul_f32 v[128:129], v[4:5], v[128:129]                // 0000000134EC: D3B14080 18030104
	v_pk_mul_f32 v[130:131], v[4:5], v[130:131]                // 0000000134F4: D3B14082 18030504
	v_cvt_pk_fp8_f32 v128, v128, v129                          // 0000000134FC: D2A20080 00030380
	v_cvt_pk_fp8_f32 v128, v130, v131 op_sel:[0,0,1]           // 000000013504: D2A24080 00030782
	v_rcp_f32_e32 v150, v150                                   // 00000001350C: 7F2C4596
	v_mov_b32_e32 v146, 0x358637bd                             // 000000013510: 7F2402FF 358637BD
	v_max3_f32 v146, |v72|, |v73|, v146                        // 000000013518: D1D30392 064A9348
	v_max3_f32 v146, |v74|, |v75|, v146                        // 000000013520: D1D30392 064A974A
	v_max3_f32 v146, |v92|, |v93|, v146                        // 000000013528: D1D30392 064ABB5C
	v_max3_f32 v146, |v94|, |v95|, v146                        // 000000013530: D1D30392 064ABF5E
	ds_write_b32 v154, v146                                    // 000000013538: D81A0000 0000929A
	s_waitcnt lgkmcnt(0)                                       // 000000013540: BF8CC07F
	s_barrier                                                  // 000000013544: BF8A0000
	ds_read_b32 v4, v155                                       // 000000013548: D86C0000 0400009B
	ds_read_b32 v5, v155 offset:64                             // 000000013550: D86C0040 0500009B
	ds_read_b32 v6, v155 offset:128                            // 000000013558: D86C0080 0600009B
	ds_read_b32 v7, v155 offset:192                            // 000000013560: D86C00C0 0700009B
	ds_read_b32 v8, v155 offset:256                            // 000000013568: D86C0100 0800009B
	ds_read_b32 v9, v155 offset:320                            // 000000013570: D86C0140 0900009B
	ds_read_b32 v10, v155 offset:384                           // 000000013578: D86C0180 0A00009B
	ds_read_b32 v11, v155 offset:448                           // 000000013580: D86C01C0 0B00009B
	ds_read_b32 v12, v155 offset:512                           // 000000013588: D86C0200 0C00009B
	ds_read_b32 v13, v155 offset:576                           // 000000013590: D86C0240 0D00009B
	ds_read_b32 v14, v155 offset:640                           // 000000013598: D86C0280 0E00009B
	ds_read_b32 v15, v155 offset:704                           // 0000000135A0: D86C02C0 0F00009B
	ds_read_b32 v16, v155 offset:768                           // 0000000135A8: D86C0300 1000009B
	ds_read_b32 v17, v155 offset:832                           // 0000000135B0: D86C0340 1100009B
	ds_read_b32 v18, v155 offset:896                           // 0000000135B8: D86C0380 1200009B
	ds_read_b32 v19, v155 offset:960                           // 0000000135C0: D86C03C0 1300009B
	s_waitcnt lgkmcnt(0)                                       // 0000000135C8: BF8CC07F
	s_barrier                                                  // 0000000135CC: BF8A0000
	v_max3_f32 v146, |v4|, |v5|, v146                          // 0000000135D0: D1D30392 064A0B04
	v_max3_f32 v146, |v6|, |v7|, v146                          // 0000000135D8: D1D30392 064A0F06
	v_max3_f32 v146, |v8|, |v9|, v146                          // 0000000135E0: D1D30392 064A1308
	v_max3_f32 v146, |v10|, |v11|, v146                        // 0000000135E8: D1D30392 064A170A
	v_max3_f32 v146, |v12|, |v13|, v146                        // 0000000135F0: D1D30392 064A1B0C
	v_max3_f32 v146, |v14|, |v15|, v146                        // 0000000135F8: D1D30392 064A1F0E
	v_max3_f32 v146, |v16|, |v17|, v146                        // 000000013600: D1D30392 064A2310
	v_max3_f32 v146, |v18|, |v19|, v146                        // 000000013608: D1D30392 064A2712
	v_rcp_f32_e32 v146, v146                                   // 000000013610: 7F244592
	v_mov_b32_e32 v4, 0x43700000                               // 000000013614: 7E0802FF 43700000
	v_mul_f32_e32 v146, v4, v146                               // 00000001361C: 0B252504
	v_mov_b32_e32 v4, v146                                     // 000000013620: 7E080392
	v_mov_b32_e32 v5, v4                                       // 000000013624: 7E0A0304
	v_pk_mul_f32 v[72:73], v[4:5], v[72:73]                    // 000000013628: D3B14048 18029104
	v_pk_mul_f32 v[74:75], v[4:5], v[74:75]                    // 000000013630: D3B1404A 18029504
	v_cvt_pk_fp8_f32 v72, v72, v73                             // 000000013638: D2A20048 00029348
	v_cvt_pk_fp8_f32 v72, v74, v75 op_sel:[0,0,1]              // 000000013640: D2A24048 0002974A
	v_pk_mul_f32 v[92:93], v[4:5], v[92:93]                    // 000000013648: D3B1405C 1802B904
	v_pk_mul_f32 v[94:95], v[4:5], v[94:95]                    // 000000013650: D3B1405E 1802BD04
	v_cvt_pk_fp8_f32 v92, v92, v93                             // 000000013658: D2A2005C 0002BB5C
	v_cvt_pk_fp8_f32 v92, v94, v95 op_sel:[0,0,1]              // 000000013660: D2A2405C 0002BF5E
	v_rcp_f32_e32 v146, v146                                   // 000000013668: 7F244592
	v_mov_b32_e32 v151, 0x358637bd                             // 00000001366C: 7F2E02FF 358637BD
	v_max3_f32 v151, |v112|, |v113|, v151                      // 000000013674: D1D30397 065EE370
	v_max3_f32 v151, |v114|, |v115|, v151                      // 00000001367C: D1D30397 065EE772
	v_max3_f32 v151, |v132|, |v133|, v151                      // 000000013684: D1D30397 065F0B84
	v_max3_f32 v151, |v134|, |v135|, v151                      // 00000001368C: D1D30397 065F0F86
	ds_write_b32 v154, v151                                    // 000000013694: D81A0000 0000979A
	s_waitcnt lgkmcnt(0)                                       // 00000001369C: BF8CC07F
	s_barrier                                                  // 0000000136A0: BF8A0000
	ds_read_b32 v4, v155                                       // 0000000136A4: D86C0000 0400009B
	ds_read_b32 v5, v155 offset:64                             // 0000000136AC: D86C0040 0500009B
	ds_read_b32 v6, v155 offset:128                            // 0000000136B4: D86C0080 0600009B
	ds_read_b32 v7, v155 offset:192                            // 0000000136BC: D86C00C0 0700009B
	ds_read_b32 v8, v155 offset:256                            // 0000000136C4: D86C0100 0800009B
	ds_read_b32 v9, v155 offset:320                            // 0000000136CC: D86C0140 0900009B
	ds_read_b32 v10, v155 offset:384                           // 0000000136D4: D86C0180 0A00009B
	ds_read_b32 v11, v155 offset:448                           // 0000000136DC: D86C01C0 0B00009B
	ds_read_b32 v12, v155 offset:512                           // 0000000136E4: D86C0200 0C00009B
	ds_read_b32 v13, v155 offset:576                           // 0000000136EC: D86C0240 0D00009B
	ds_read_b32 v14, v155 offset:640                           // 0000000136F4: D86C0280 0E00009B
	ds_read_b32 v15, v155 offset:704                           // 0000000136FC: D86C02C0 0F00009B
	ds_read_b32 v16, v155 offset:768                           // 000000013704: D86C0300 1000009B
	ds_read_b32 v17, v155 offset:832                           // 00000001370C: D86C0340 1100009B
	ds_read_b32 v18, v155 offset:896                           // 000000013714: D86C0380 1200009B
	ds_read_b32 v19, v155 offset:960                           // 00000001371C: D86C03C0 1300009B
	s_waitcnt lgkmcnt(0)                                       // 000000013724: BF8CC07F
	s_barrier                                                  // 000000013728: BF8A0000
	v_max3_f32 v151, |v4|, |v5|, v151                          // 00000001372C: D1D30397 065E0B04
	v_max3_f32 v151, |v6|, |v7|, v151                          // 000000013734: D1D30397 065E0F06
	v_max3_f32 v151, |v8|, |v9|, v151                          // 00000001373C: D1D30397 065E1308
	v_max3_f32 v151, |v10|, |v11|, v151                        // 000000013744: D1D30397 065E170A
	v_max3_f32 v151, |v12|, |v13|, v151                        // 00000001374C: D1D30397 065E1B0C
	v_max3_f32 v151, |v14|, |v15|, v151                        // 000000013754: D1D30397 065E1F0E
	v_max3_f32 v151, |v16|, |v17|, v151                        // 00000001375C: D1D30397 065E2310
	v_max3_f32 v151, |v18|, |v19|, v151                        // 000000013764: D1D30397 065E2712
	v_rcp_f32_e32 v151, v151                                   // 00000001376C: 7F2E4597
	v_mov_b32_e32 v4, 0x43700000                               // 000000013770: 7E0802FF 43700000
	v_mul_f32_e32 v151, v4, v151                               // 000000013778: 0B2F2F04
	v_mov_b32_e32 v4, v151                                     // 00000001377C: 7E080397
	v_mov_b32_e32 v5, v4                                       // 000000013780: 7E0A0304
	v_pk_mul_f32 v[112:113], v[4:5], v[112:113]                // 000000013784: D3B14070 1802E104
	v_pk_mul_f32 v[114:115], v[4:5], v[114:115]                // 00000001378C: D3B14072 1802E504
	v_cvt_pk_fp8_f32 v112, v112, v113                          // 000000013794: D2A20070 0002E370
	v_cvt_pk_fp8_f32 v112, v114, v115 op_sel:[0,0,1]           // 00000001379C: D2A24070 0002E772
	v_pk_mul_f32 v[132:133], v[4:5], v[132:133]                // 0000000137A4: D3B14084 18030904
	v_pk_mul_f32 v[134:135], v[4:5], v[134:135]                // 0000000137AC: D3B14086 18030D04
	v_cvt_pk_fp8_f32 v132, v132, v133                          // 0000000137B4: D2A20084 00030B84
	v_cvt_pk_fp8_f32 v132, v134, v135 op_sel:[0,0,1]           // 0000000137BC: D2A24084 00030F86
	v_rcp_f32_e32 v151, v151                                   // 0000000137C4: 7F2E4597
	v_mov_b32_e32 v147, 0x358637bd                             // 0000000137C8: 7F2602FF 358637BD
	v_max3_f32 v147, |v76|, |v77|, v147                        // 0000000137D0: D1D30393 064E9B4C
	v_max3_f32 v147, |v78|, |v79|, v147                        // 0000000137D8: D1D30393 064E9F4E
	v_max3_f32 v147, |v96|, |v97|, v147                        // 0000000137E0: D1D30393 064EC360
	v_max3_f32 v147, |v98|, |v99|, v147                        // 0000000137E8: D1D30393 064EC762
	ds_write_b32 v154, v147                                    // 0000000137F0: D81A0000 0000939A
	s_waitcnt lgkmcnt(0)                                       // 0000000137F8: BF8CC07F
	s_barrier                                                  // 0000000137FC: BF8A0000
	ds_read_b32 v4, v155                                       // 000000013800: D86C0000 0400009B
	ds_read_b32 v5, v155 offset:64                             // 000000013808: D86C0040 0500009B
	ds_read_b32 v6, v155 offset:128                            // 000000013810: D86C0080 0600009B
	ds_read_b32 v7, v155 offset:192                            // 000000013818: D86C00C0 0700009B
	ds_read_b32 v8, v155 offset:256                            // 000000013820: D86C0100 0800009B
	ds_read_b32 v9, v155 offset:320                            // 000000013828: D86C0140 0900009B
	ds_read_b32 v10, v155 offset:384                           // 000000013830: D86C0180 0A00009B
	ds_read_b32 v11, v155 offset:448                           // 000000013838: D86C01C0 0B00009B
	ds_read_b32 v12, v155 offset:512                           // 000000013840: D86C0200 0C00009B
	ds_read_b32 v13, v155 offset:576                           // 000000013848: D86C0240 0D00009B
	ds_read_b32 v14, v155 offset:640                           // 000000013850: D86C0280 0E00009B
	ds_read_b32 v15, v155 offset:704                           // 000000013858: D86C02C0 0F00009B
	ds_read_b32 v16, v155 offset:768                           // 000000013860: D86C0300 1000009B
	ds_read_b32 v17, v155 offset:832                           // 000000013868: D86C0340 1100009B
	ds_read_b32 v18, v155 offset:896                           // 000000013870: D86C0380 1200009B
	ds_read_b32 v19, v155 offset:960                           // 000000013878: D86C03C0 1300009B
	s_waitcnt lgkmcnt(0)                                       // 000000013880: BF8CC07F
	s_barrier                                                  // 000000013884: BF8A0000
	v_max3_f32 v147, |v4|, |v5|, v147                          // 000000013888: D1D30393 064E0B04
	v_max3_f32 v147, |v6|, |v7|, v147                          // 000000013890: D1D30393 064E0F06
	v_max3_f32 v147, |v8|, |v9|, v147                          // 000000013898: D1D30393 064E1308
	v_max3_f32 v147, |v10|, |v11|, v147                        // 0000000138A0: D1D30393 064E170A
	v_max3_f32 v147, |v12|, |v13|, v147                        // 0000000138A8: D1D30393 064E1B0C
	v_max3_f32 v147, |v14|, |v15|, v147                        // 0000000138B0: D1D30393 064E1F0E
	v_max3_f32 v147, |v16|, |v17|, v147                        // 0000000138B8: D1D30393 064E2310
	v_max3_f32 v147, |v18|, |v19|, v147                        // 0000000138C0: D1D30393 064E2712
	v_rcp_f32_e32 v147, v147                                   // 0000000138C8: 7F264593
	v_mov_b32_e32 v4, 0x43700000                               // 0000000138CC: 7E0802FF 43700000
	v_mul_f32_e32 v147, v4, v147                               // 0000000138D4: 0B272704
	v_mov_b32_e32 v4, v147                                     // 0000000138D8: 7E080393
	v_mov_b32_e32 v5, v4                                       // 0000000138DC: 7E0A0304
	v_pk_mul_f32 v[76:77], v[4:5], v[76:77]                    // 0000000138E0: D3B1404C 18029904
	v_pk_mul_f32 v[78:79], v[4:5], v[78:79]                    // 0000000138E8: D3B1404E 18029D04
	v_cvt_pk_fp8_f32 v76, v76, v77                             // 0000000138F0: D2A2004C 00029B4C
	v_cvt_pk_fp8_f32 v76, v78, v79 op_sel:[0,0,1]              // 0000000138F8: D2A2404C 00029F4E
	v_pk_mul_f32 v[96:97], v[4:5], v[96:97]                    // 000000013900: D3B14060 1802C104
	v_pk_mul_f32 v[98:99], v[4:5], v[98:99]                    // 000000013908: D3B14062 1802C504
	v_cvt_pk_fp8_f32 v96, v96, v97                             // 000000013910: D2A20060 0002C360
	v_cvt_pk_fp8_f32 v96, v98, v99 op_sel:[0,0,1]              // 000000013918: D2A24060 0002C762
	v_rcp_f32_e32 v147, v147                                   // 000000013920: 7F264593
	v_mov_b32_e32 v152, 0x358637bd                             // 000000013924: 7F3002FF 358637BD
	v_max3_f32 v152, |v116|, |v117|, v152                      // 00000001392C: D1D30398 0662EB74
	v_max3_f32 v152, |v118|, |v119|, v152                      // 000000013934: D1D30398 0662EF76
	v_max3_f32 v152, |v136|, |v137|, v152                      // 00000001393C: D1D30398 06631388
	v_max3_f32 v152, |v138|, |v139|, v152                      // 000000013944: D1D30398 0663178A
	ds_write_b32 v154, v152                                    // 00000001394C: D81A0000 0000989A
	s_waitcnt lgkmcnt(0)                                       // 000000013954: BF8CC07F
	s_barrier                                                  // 000000013958: BF8A0000
	ds_read_b32 v4, v155                                       // 00000001395C: D86C0000 0400009B
	ds_read_b32 v5, v155 offset:64                             // 000000013964: D86C0040 0500009B
	ds_read_b32 v6, v155 offset:128                            // 00000001396C: D86C0080 0600009B
	ds_read_b32 v7, v155 offset:192                            // 000000013974: D86C00C0 0700009B
	ds_read_b32 v8, v155 offset:256                            // 00000001397C: D86C0100 0800009B
	ds_read_b32 v9, v155 offset:320                            // 000000013984: D86C0140 0900009B
	ds_read_b32 v10, v155 offset:384                           // 00000001398C: D86C0180 0A00009B
	ds_read_b32 v11, v155 offset:448                           // 000000013994: D86C01C0 0B00009B
	ds_read_b32 v12, v155 offset:512                           // 00000001399C: D86C0200 0C00009B
	ds_read_b32 v13, v155 offset:576                           // 0000000139A4: D86C0240 0D00009B
	ds_read_b32 v14, v155 offset:640                           // 0000000139AC: D86C0280 0E00009B
	ds_read_b32 v15, v155 offset:704                           // 0000000139B4: D86C02C0 0F00009B
	ds_read_b32 v16, v155 offset:768                           // 0000000139BC: D86C0300 1000009B
	ds_read_b32 v17, v155 offset:832                           // 0000000139C4: D86C0340 1100009B
	ds_read_b32 v18, v155 offset:896                           // 0000000139CC: D86C0380 1200009B
	ds_read_b32 v19, v155 offset:960                           // 0000000139D4: D86C03C0 1300009B
	s_waitcnt lgkmcnt(0)                                       // 0000000139DC: BF8CC07F
	s_barrier                                                  // 0000000139E0: BF8A0000
	v_max3_f32 v152, |v4|, |v5|, v152                          // 0000000139E4: D1D30398 06620B04
	v_max3_f32 v152, |v6|, |v7|, v152                          // 0000000139EC: D1D30398 06620F06
	v_max3_f32 v152, |v8|, |v9|, v152                          // 0000000139F4: D1D30398 06621308
	v_max3_f32 v152, |v10|, |v11|, v152                        // 0000000139FC: D1D30398 0662170A
	v_max3_f32 v152, |v12|, |v13|, v152                        // 000000013A04: D1D30398 06621B0C
	v_max3_f32 v152, |v14|, |v15|, v152                        // 000000013A0C: D1D30398 06621F0E
	v_max3_f32 v152, |v16|, |v17|, v152                        // 000000013A14: D1D30398 06622310
	v_max3_f32 v152, |v18|, |v19|, v152                        // 000000013A1C: D1D30398 06622712
	v_rcp_f32_e32 v152, v152                                   // 000000013A24: 7F304598
	v_mov_b32_e32 v4, 0x43700000                               // 000000013A28: 7E0802FF 43700000
	v_mul_f32_e32 v152, v4, v152                               // 000000013A30: 0B313104
	v_mov_b32_e32 v4, v152                                     // 000000013A34: 7E080398
	v_mov_b32_e32 v5, v4                                       // 000000013A38: 7E0A0304
	v_pk_mul_f32 v[116:117], v[4:5], v[116:117]                // 000000013A3C: D3B14074 1802E904
	v_pk_mul_f32 v[118:119], v[4:5], v[118:119]                // 000000013A44: D3B14076 1802ED04
	v_cvt_pk_fp8_f32 v116, v116, v117                          // 000000013A4C: D2A20074 0002EB74
	v_cvt_pk_fp8_f32 v116, v118, v119 op_sel:[0,0,1]           // 000000013A54: D2A24074 0002EF76
	v_pk_mul_f32 v[136:137], v[4:5], v[136:137]                // 000000013A5C: D3B14088 18031104
	v_pk_mul_f32 v[138:139], v[4:5], v[138:139]                // 000000013A64: D3B1408A 18031504
	v_cvt_pk_fp8_f32 v136, v136, v137                          // 000000013A6C: D2A20088 00031388
	v_cvt_pk_fp8_f32 v136, v138, v139 op_sel:[0,0,1]           // 000000013A74: D2A24088 0003178A
	v_rcp_f32_e32 v152, v152                                   // 000000013A7C: 7F304598
	v_mov_b32_e32 v148, 0x358637bd                             // 000000013A80: 7F2802FF 358637BD
	v_max3_f32 v148, |v80|, |v81|, v148                        // 000000013A88: D1D30394 0652A350
	v_max3_f32 v148, |v82|, |v83|, v148                        // 000000013A90: D1D30394 0652A752
	v_max3_f32 v148, |v100|, |v101|, v148                      // 000000013A98: D1D30394 0652CB64
	v_max3_f32 v148, |v102|, |v103|, v148                      // 000000013AA0: D1D30394 0652CF66
	ds_write_b32 v154, v148                                    // 000000013AA8: D81A0000 0000949A
	s_waitcnt lgkmcnt(0)                                       // 000000013AB0: BF8CC07F
	s_barrier                                                  // 000000013AB4: BF8A0000
	ds_read_b32 v4, v155                                       // 000000013AB8: D86C0000 0400009B
	ds_read_b32 v5, v155 offset:64                             // 000000013AC0: D86C0040 0500009B
	ds_read_b32 v6, v155 offset:128                            // 000000013AC8: D86C0080 0600009B
	ds_read_b32 v7, v155 offset:192                            // 000000013AD0: D86C00C0 0700009B
	ds_read_b32 v8, v155 offset:256                            // 000000013AD8: D86C0100 0800009B
	ds_read_b32 v9, v155 offset:320                            // 000000013AE0: D86C0140 0900009B
	ds_read_b32 v10, v155 offset:384                           // 000000013AE8: D86C0180 0A00009B
	ds_read_b32 v11, v155 offset:448                           // 000000013AF0: D86C01C0 0B00009B
	ds_read_b32 v12, v155 offset:512                           // 000000013AF8: D86C0200 0C00009B
	ds_read_b32 v13, v155 offset:576                           // 000000013B00: D86C0240 0D00009B
	ds_read_b32 v14, v155 offset:640                           // 000000013B08: D86C0280 0E00009B
	ds_read_b32 v15, v155 offset:704                           // 000000013B10: D86C02C0 0F00009B
	ds_read_b32 v16, v155 offset:768                           // 000000013B18: D86C0300 1000009B
	ds_read_b32 v17, v155 offset:832                           // 000000013B20: D86C0340 1100009B
	ds_read_b32 v18, v155 offset:896                           // 000000013B28: D86C0380 1200009B
	ds_read_b32 v19, v155 offset:960                           // 000000013B30: D86C03C0 1300009B
	s_waitcnt lgkmcnt(0)                                       // 000000013B38: BF8CC07F
	s_barrier                                                  // 000000013B3C: BF8A0000
	v_max3_f32 v148, |v4|, |v5|, v148                          // 000000013B40: D1D30394 06520B04
	v_max3_f32 v148, |v6|, |v7|, v148                          // 000000013B48: D1D30394 06520F06
	v_max3_f32 v148, |v8|, |v9|, v148                          // 000000013B50: D1D30394 06521308
	v_max3_f32 v148, |v10|, |v11|, v148                        // 000000013B58: D1D30394 0652170A
	v_max3_f32 v148, |v12|, |v13|, v148                        // 000000013B60: D1D30394 06521B0C
	v_max3_f32 v148, |v14|, |v15|, v148                        // 000000013B68: D1D30394 06521F0E
	v_max3_f32 v148, |v16|, |v17|, v148                        // 000000013B70: D1D30394 06522310
	v_max3_f32 v148, |v18|, |v19|, v148                        // 000000013B78: D1D30394 06522712
	v_rcp_f32_e32 v148, v148                                   // 000000013B80: 7F284594
	v_mov_b32_e32 v4, 0x43700000                               // 000000013B84: 7E0802FF 43700000
	v_mul_f32_e32 v148, v4, v148                               // 000000013B8C: 0B292904
	v_mov_b32_e32 v4, v148                                     // 000000013B90: 7E080394
	v_mov_b32_e32 v5, v4                                       // 000000013B94: 7E0A0304
	v_pk_mul_f32 v[80:81], v[4:5], v[80:81]                    // 000000013B98: D3B14050 1802A104
	v_pk_mul_f32 v[82:83], v[4:5], v[82:83]                    // 000000013BA0: D3B14052 1802A504
	v_cvt_pk_fp8_f32 v80, v80, v81                             // 000000013BA8: D2A20050 0002A350
	v_cvt_pk_fp8_f32 v80, v82, v83 op_sel:[0,0,1]              // 000000013BB0: D2A24050 0002A752
	v_pk_mul_f32 v[100:101], v[4:5], v[100:101]                // 000000013BB8: D3B14064 1802C904
	v_pk_mul_f32 v[102:103], v[4:5], v[102:103]                // 000000013BC0: D3B14066 1802CD04
	v_cvt_pk_fp8_f32 v100, v100, v101                          // 000000013BC8: D2A20064 0002CB64
	v_cvt_pk_fp8_f32 v100, v102, v103 op_sel:[0,0,1]           // 000000013BD0: D2A24064 0002CF66
	v_rcp_f32_e32 v148, v148                                   // 000000013BD8: 7F284594
	v_mov_b32_e32 v153, 0x358637bd                             // 000000013BDC: 7F3202FF 358637BD
	v_max3_f32 v153, |v120|, |v121|, v153                      // 000000013BE4: D1D30399 0666F378
	v_max3_f32 v153, |v122|, |v123|, v153                      // 000000013BEC: D1D30399 0666F77A
	v_max3_f32 v153, |v140|, |v141|, v153                      // 000000013BF4: D1D30399 06671B8C
	v_max3_f32 v153, |v142|, |v143|, v153                      // 000000013BFC: D1D30399 06671F8E
	ds_write_b32 v154, v153                                    // 000000013C04: D81A0000 0000999A
	s_waitcnt lgkmcnt(0)                                       // 000000013C0C: BF8CC07F
	s_barrier                                                  // 000000013C10: BF8A0000
	ds_read_b32 v4, v155                                       // 000000013C14: D86C0000 0400009B
	ds_read_b32 v5, v155 offset:64                             // 000000013C1C: D86C0040 0500009B
	ds_read_b32 v6, v155 offset:128                            // 000000013C24: D86C0080 0600009B
	ds_read_b32 v7, v155 offset:192                            // 000000013C2C: D86C00C0 0700009B
	ds_read_b32 v8, v155 offset:256                            // 000000013C34: D86C0100 0800009B
	ds_read_b32 v9, v155 offset:320                            // 000000013C3C: D86C0140 0900009B
	ds_read_b32 v10, v155 offset:384                           // 000000013C44: D86C0180 0A00009B
	ds_read_b32 v11, v155 offset:448                           // 000000013C4C: D86C01C0 0B00009B
	ds_read_b32 v12, v155 offset:512                           // 000000013C54: D86C0200 0C00009B
	ds_read_b32 v13, v155 offset:576                           // 000000013C5C: D86C0240 0D00009B
	ds_read_b32 v14, v155 offset:640                           // 000000013C64: D86C0280 0E00009B
	ds_read_b32 v15, v155 offset:704                           // 000000013C6C: D86C02C0 0F00009B
	ds_read_b32 v16, v155 offset:768                           // 000000013C74: D86C0300 1000009B
	ds_read_b32 v17, v155 offset:832                           // 000000013C7C: D86C0340 1100009B
	ds_read_b32 v18, v155 offset:896                           // 000000013C84: D86C0380 1200009B
	ds_read_b32 v19, v155 offset:960                           // 000000013C8C: D86C03C0 1300009B
	s_waitcnt lgkmcnt(0)                                       // 000000013C94: BF8CC07F
	s_barrier                                                  // 000000013C98: BF8A0000
	v_max3_f32 v153, |v4|, |v5|, v153                          // 000000013C9C: D1D30399 06660B04
	v_max3_f32 v153, |v6|, |v7|, v153                          // 000000013CA4: D1D30399 06660F06
	v_max3_f32 v153, |v8|, |v9|, v153                          // 000000013CAC: D1D30399 06661308
	v_max3_f32 v153, |v10|, |v11|, v153                        // 000000013CB4: D1D30399 0666170A
	v_max3_f32 v153, |v12|, |v13|, v153                        // 000000013CBC: D1D30399 06661B0C
	v_max3_f32 v153, |v14|, |v15|, v153                        // 000000013CC4: D1D30399 06661F0E
	v_max3_f32 v153, |v16|, |v17|, v153                        // 000000013CCC: D1D30399 06662310
	v_max3_f32 v153, |v18|, |v19|, v153                        // 000000013CD4: D1D30399 06662712
	v_rcp_f32_e32 v153, v153                                   // 000000013CDC: 7F324599
	v_mov_b32_e32 v4, 0x43700000                               // 000000013CE0: 7E0802FF 43700000
	v_mul_f32_e32 v153, v4, v153                               // 000000013CE8: 0B333304
	v_mov_b32_e32 v4, v153                                     // 000000013CEC: 7E080399
	v_mov_b32_e32 v5, v4                                       // 000000013CF0: 7E0A0304
	v_pk_mul_f32 v[120:121], v[4:5], v[120:121]                // 000000013CF4: D3B14078 1802F104
	v_pk_mul_f32 v[122:123], v[4:5], v[122:123]                // 000000013CFC: D3B1407A 1802F504
	v_cvt_pk_fp8_f32 v120, v120, v121                          // 000000013D04: D2A20078 0002F378
	v_cvt_pk_fp8_f32 v120, v122, v123 op_sel:[0,0,1]           // 000000013D0C: D2A24078 0002F77A
	v_pk_mul_f32 v[140:141], v[4:5], v[140:141]                // 000000013D14: D3B1408C 18031904
	v_pk_mul_f32 v[142:143], v[4:5], v[142:143]                // 000000013D1C: D3B1408E 18031D04
	v_cvt_pk_fp8_f32 v140, v140, v141                          // 000000013D24: D2A2008C 00031B8C
	v_cvt_pk_fp8_f32 v140, v142, v143 op_sel:[0,0,1]           // 000000013D2C: D2A2408C 00031F8E
	v_rcp_f32_e32 v153, v153                                   // 000000013D34: 7F324599
	v_lshrrev_b32_e32 v4, 5, v0                                // 000000013D38: 20080085
	v_mul_lo_u32 v20, 34, v4                                   // 000000013D3C: D2850014 000208A2
	v_and_b32_e32 v4, 31, v0                                   // 000000013D44: 2608009F
	v_lshrrev_b32_e32 v5, 4, v4                                // 000000013D48: 200A0884
	v_add_u32_e32 v20, v5, v20                                 // 000000013D4C: 68282905
	v_and_b32_e32 v4, 15, v0                                   // 000000013D50: 2608008F
	v_mul_lo_u32 v5, 2, v4                                     // 000000013D54: D2850005 00020882
	v_add_u32_e32 v20, v5, v20                                 // 000000013D5C: 68282905
	s_mul_i32 s60, s7, 0x44                                    // 000000013D60: 923CFF07 00000044
	v_add_u32_e32 v20, s60, v20                                // 000000013D68: 6828283C
	v_lshlrev_b32_e32 v20, 2, v20                              // 000000013D6C: 24282882
	ds_write_b32 v20, v64                                      // 000000013D70: D81A0000 00004014
	ds_write_b32 v20, v68 offset:4352                          // 000000013D78: D81A1100 00004414
	ds_write_b32 v20, v72 offset:8704                          // 000000013D80: D81A2200 00004814
	ds_write_b32 v20, v76 offset:13056                         // 000000013D88: D81A3300 00004C14
	ds_write_b32 v20, v80 offset:17408                         // 000000013D90: D81A4400 00005014
	ds_write_b32 v20, v84 offset:1088                          // 000000013D98: D81A0440 00005414
	ds_write_b32 v20, v88 offset:5440                          // 000000013DA0: D81A1540 00005814
	ds_write_b32 v20, v92 offset:9792                          // 000000013DA8: D81A2640 00005C14
	ds_write_b32 v20, v96 offset:14144                         // 000000013DB0: D81A3740 00006014
	ds_write_b32 v20, v100 offset:18496                        // 000000013DB8: D81A4840 00006414
	ds_write_b32 v20, v104 offset:2176                         // 000000013DC0: D81A0880 00006814
	ds_write_b32 v20, v108 offset:6528                         // 000000013DC8: D81A1980 00006C14
	ds_write_b32 v20, v112 offset:10880                        // 000000013DD0: D81A2A80 00007014
	ds_write_b32 v20, v116 offset:15232                        // 000000013DD8: D81A3B80 00007414
	ds_write_b32 v20, v120 offset:19584                        // 000000013DE0: D81A4C80 00007814
	ds_write_b32 v20, v124 offset:3264                         // 000000013DE8: D81A0CC0 00007C14
	ds_write_b32 v20, v128 offset:7616                         // 000000013DF0: D81A1DC0 00008014
	ds_write_b32 v20, v132 offset:11968                        // 000000013DF8: D81A2EC0 00008414
	ds_write_b32 v20, v136 offset:16320                        // 000000013E00: D81A3FC0 00008814
	ds_write_b32 v20, v140 offset:20672                        // 000000013E08: D81A50C0 00008C14
	v_lshrrev_b32_e32 v4, 5, v0                                // 000000013E10: 20080085
	v_xor_b32_e32 v5, 1, v4                                    // 000000013E14: 2A0A0881
	s_mul_i32 s60, s65, 1                                      // 000000013E18: 923C8141
	s_cmp_eq_u32 s88, 0                                        // 000000013E1C: BF068058
	s_cselect_b32 s61, 1, 8                                    // 000000013E20: 853D8881
	s_mul_i32 s60, s61, s60                                    // 000000013E24: 923C3C3D
	v_readlane_b32 s82, v3, 0                                  // 000000013E28: D2890052 00010103
	s_lshr_b32 s61, s82, 24                                    // 000000013E30: 8F3D9852
	s_and_b32 s82, s82, 0xffffff                               // 000000013E34: 8652FF52 00FFFFFF
	s_mul_i32 s82, s82, s71                                    // 000000013E3C: 92524752
	s_mul_i32 s61, s60, s61                                    // 000000013E40: 923D3D3C
	s_add_u32 s82, s82, s61                                    // 000000013E44: 80523D52
	v_mul_lo_u32 v6, v5, s82                                   // 000000013E48: D2850006 0000A505
	v_readlane_b32 s82, v3, 1                                  // 000000013E50: D2890052 00010303
	s_lshr_b32 s61, s82, 24                                    // 000000013E58: 8F3D9852
	s_and_b32 s82, s82, 0xffffff                               // 000000013E5C: 8652FF52 00FFFFFF
	s_mul_i32 s82, s82, s71                                    // 000000013E64: 92524752
	s_mul_i32 s61, s60, s61                                    // 000000013E68: 923D3D3C
	s_add_u32 s82, s82, s61                                    // 000000013E6C: 80523D52
	v_mul_lo_u32 v7, v4, s82                                   // 000000013E70: D2850007 0000A504
	v_add_u32_e32 v50, v6, v7                                  // 000000013E78: 68640F06
	v_readlane_b32 s82, v3, 2                                  // 000000013E7C: D2890052 00010503
	s_lshr_b32 s61, s82, 24                                    // 000000013E84: 8F3D9852
	s_and_b32 s82, s82, 0xffffff                               // 000000013E88: 8652FF52 00FFFFFF
	s_mul_i32 s82, s82, s71                                    // 000000013E90: 92524752
	s_mul_i32 s61, s60, s61                                    // 000000013E94: 923D3D3C
	s_add_u32 s82, s82, s61                                    // 000000013E98: 80523D52
	v_mul_lo_u32 v6, v5, s82                                   // 000000013E9C: D2850006 0000A505
	v_readlane_b32 s82, v3, 3                                  // 000000013EA4: D2890052 00010703
	s_lshr_b32 s61, s82, 24                                    // 000000013EAC: 8F3D9852
	s_and_b32 s82, s82, 0xffffff                               // 000000013EB0: 8652FF52 00FFFFFF
	s_mul_i32 s82, s82, s71                                    // 000000013EB8: 92524752
	s_mul_i32 s61, s60, s61                                    // 000000013EBC: 923D3D3C
	s_add_u32 s82, s82, s61                                    // 000000013EC0: 80523D52
	v_mul_lo_u32 v7, v4, s82                                   // 000000013EC4: D2850007 0000A504
	v_add_u32_e32 v51, v6, v7                                  // 000000013ECC: 68660F06
	v_readlane_b32 s82, v3, 4                                  // 000000013ED0: D2890052 00010903
	s_lshr_b32 s61, s82, 24                                    // 000000013ED8: 8F3D9852
	s_and_b32 s82, s82, 0xffffff                               // 000000013EDC: 8652FF52 00FFFFFF
	s_mul_i32 s82, s82, s71                                    // 000000013EE4: 92524752
	s_mul_i32 s61, s60, s61                                    // 000000013EE8: 923D3D3C
	s_add_u32 s82, s82, s61                                    // 000000013EEC: 80523D52
	v_mul_lo_u32 v6, v5, s82                                   // 000000013EF0: D2850006 0000A505
	v_readlane_b32 s82, v3, 5                                  // 000000013EF8: D2890052 00010B03
	s_lshr_b32 s61, s82, 24                                    // 000000013F00: 8F3D9852
	s_and_b32 s82, s82, 0xffffff                               // 000000013F04: 8652FF52 00FFFFFF
	s_mul_i32 s82, s82, s71                                    // 000000013F0C: 92524752
	s_mul_i32 s61, s60, s61                                    // 000000013F10: 923D3D3C
	s_add_u32 s82, s82, s61                                    // 000000013F14: 80523D52
	v_mul_lo_u32 v7, v4, s82                                   // 000000013F18: D2850007 0000A504
	v_add_u32_e32 v52, v6, v7                                  // 000000013F20: 68680F06
	v_readlane_b32 s82, v3, 6                                  // 000000013F24: D2890052 00010D03
	s_lshr_b32 s61, s82, 24                                    // 000000013F2C: 8F3D9852
	s_and_b32 s82, s82, 0xffffff                               // 000000013F30: 8652FF52 00FFFFFF
	s_mul_i32 s82, s82, s71                                    // 000000013F38: 92524752
	s_mul_i32 s61, s60, s61                                    // 000000013F3C: 923D3D3C
	s_add_u32 s82, s82, s61                                    // 000000013F40: 80523D52
	v_mul_lo_u32 v6, v5, s82                                   // 000000013F44: D2850006 0000A505
	v_readlane_b32 s82, v3, 7                                  // 000000013F4C: D2890052 00010F03
	s_lshr_b32 s61, s82, 24                                    // 000000013F54: 8F3D9852
	s_and_b32 s82, s82, 0xffffff                               // 000000013F58: 8652FF52 00FFFFFF
	s_mul_i32 s82, s82, s71                                    // 000000013F60: 92524752
	s_mul_i32 s61, s60, s61                                    // 000000013F64: 923D3D3C
	s_add_u32 s82, s82, s61                                    // 000000013F68: 80523D52
	v_mul_lo_u32 v7, v4, s82                                   // 000000013F6C: D2850007 0000A504
	v_add_u32_e32 v53, v6, v7                                  // 000000013F74: 686A0F06
	v_readlane_b32 s82, v3, 8                                  // 000000013F78: D2890052 00011103
	s_lshr_b32 s61, s82, 24                                    // 000000013F80: 8F3D9852
	s_and_b32 s82, s82, 0xffffff                               // 000000013F84: 8652FF52 00FFFFFF
	s_mul_i32 s82, s82, s71                                    // 000000013F8C: 92524752
	s_mul_i32 s61, s60, s61                                    // 000000013F90: 923D3D3C
	s_add_u32 s82, s82, s61                                    // 000000013F94: 80523D52
	v_mul_lo_u32 v6, v5, s82                                   // 000000013F98: D2850006 0000A505
	v_readlane_b32 s82, v3, 9                                  // 000000013FA0: D2890052 00011303
	s_lshr_b32 s61, s82, 24                                    // 000000013FA8: 8F3D9852
	s_and_b32 s82, s82, 0xffffff                               // 000000013FAC: 8652FF52 00FFFFFF
	s_mul_i32 s82, s82, s71                                    // 000000013FB4: 92524752
	s_mul_i32 s61, s60, s61                                    // 000000013FB8: 923D3D3C
	s_add_u32 s82, s82, s61                                    // 000000013FBC: 80523D52
	v_mul_lo_u32 v7, v4, s82                                   // 000000013FC0: D2850007 0000A504
	v_add_u32_e32 v54, v6, v7                                  // 000000013FC8: 686C0F06
	v_readlane_b32 s82, v3, 10                                 // 000000013FCC: D2890052 00011503
	s_lshr_b32 s61, s82, 24                                    // 000000013FD4: 8F3D9852
	s_and_b32 s82, s82, 0xffffff                               // 000000013FD8: 8652FF52 00FFFFFF
	s_mul_i32 s82, s82, s71                                    // 000000013FE0: 92524752
	s_mul_i32 s61, s60, s61                                    // 000000013FE4: 923D3D3C
	s_add_u32 s82, s82, s61                                    // 000000013FE8: 80523D52
	v_mul_lo_u32 v6, v5, s82                                   // 000000013FEC: D2850006 0000A505
	v_readlane_b32 s82, v3, 11                                 // 000000013FF4: D2890052 00011703
	s_lshr_b32 s61, s82, 24                                    // 000000013FFC: 8F3D9852
	s_and_b32 s82, s82, 0xffffff                               // 000000014000: 8652FF52 00FFFFFF
	s_mul_i32 s82, s82, s71                                    // 000000014008: 92524752
	s_mul_i32 s61, s60, s61                                    // 00000001400C: 923D3D3C
	s_add_u32 s82, s82, s61                                    // 000000014010: 80523D52
	v_mul_lo_u32 v7, v4, s82                                   // 000000014014: D2850007 0000A504
	v_add_u32_e32 v55, v6, v7                                  // 00000001401C: 686E0F06
	v_readlane_b32 s82, v3, 12                                 // 000000014020: D2890052 00011903
	s_lshr_b32 s61, s82, 24                                    // 000000014028: 8F3D9852
	s_and_b32 s82, s82, 0xffffff                               // 00000001402C: 8652FF52 00FFFFFF
	s_mul_i32 s82, s82, s71                                    // 000000014034: 92524752
	s_mul_i32 s61, s60, s61                                    // 000000014038: 923D3D3C
	s_add_u32 s82, s82, s61                                    // 00000001403C: 80523D52
	v_mul_lo_u32 v6, v5, s82                                   // 000000014040: D2850006 0000A505
	v_readlane_b32 s82, v3, 13                                 // 000000014048: D2890052 00011B03
	s_lshr_b32 s61, s82, 24                                    // 000000014050: 8F3D9852
	s_and_b32 s82, s82, 0xffffff                               // 000000014054: 8652FF52 00FFFFFF
	s_mul_i32 s82, s82, s71                                    // 00000001405C: 92524752
	s_mul_i32 s61, s60, s61                                    // 000000014060: 923D3D3C
	s_add_u32 s82, s82, s61                                    // 000000014064: 80523D52
	v_mul_lo_u32 v7, v4, s82                                   // 000000014068: D2850007 0000A504
	v_add_u32_e32 v56, v6, v7                                  // 000000014070: 68700F06
	v_readlane_b32 s82, v3, 14                                 // 000000014074: D2890052 00011D03
	s_lshr_b32 s61, s82, 24                                    // 00000001407C: 8F3D9852
	s_and_b32 s82, s82, 0xffffff                               // 000000014080: 8652FF52 00FFFFFF
	s_mul_i32 s82, s82, s71                                    // 000000014088: 92524752
	s_mul_i32 s61, s60, s61                                    // 00000001408C: 923D3D3C
	s_add_u32 s82, s82, s61                                    // 000000014090: 80523D52
	v_mul_lo_u32 v6, v5, s82                                   // 000000014094: D2850006 0000A505
	v_readlane_b32 s82, v3, 15                                 // 00000001409C: D2890052 00011F03
	s_lshr_b32 s61, s82, 24                                    // 0000000140A4: 8F3D9852
	s_and_b32 s82, s82, 0xffffff                               // 0000000140A8: 8652FF52 00FFFFFF
	s_mul_i32 s82, s82, s71                                    // 0000000140B0: 92524752
	s_mul_i32 s61, s60, s61                                    // 0000000140B4: 923D3D3C
	s_add_u32 s82, s82, s61                                    // 0000000140B8: 80523D52
	v_mul_lo_u32 v7, v4, s82                                   // 0000000140BC: D2850007 0000A504
	v_add_u32_e32 v57, v6, v7                                  // 0000000140C4: 68720F06
	v_readlane_b32 s82, v3, 16                                 // 0000000140C8: D2890052 00012103
	s_lshr_b32 s61, s82, 24                                    // 0000000140D0: 8F3D9852
	s_and_b32 s82, s82, 0xffffff                               // 0000000140D4: 8652FF52 00FFFFFF
	s_mul_i32 s82, s82, s71                                    // 0000000140DC: 92524752
	s_mul_i32 s61, s60, s61                                    // 0000000140E0: 923D3D3C
	s_add_u32 s82, s82, s61                                    // 0000000140E4: 80523D52
	v_mul_lo_u32 v6, v5, s82                                   // 0000000140E8: D2850006 0000A505
	v_readlane_b32 s82, v3, 17                                 // 0000000140F0: D2890052 00012303
	s_lshr_b32 s61, s82, 24                                    // 0000000140F8: 8F3D9852
	s_and_b32 s82, s82, 0xffffff                               // 0000000140FC: 8652FF52 00FFFFFF
	s_mul_i32 s82, s82, s71                                    // 000000014104: 92524752
	s_mul_i32 s61, s60, s61                                    // 000000014108: 923D3D3C
	s_add_u32 s82, s82, s61                                    // 00000001410C: 80523D52
	v_mul_lo_u32 v7, v4, s82                                   // 000000014110: D2850007 0000A504
	v_add_u32_e32 v58, v6, v7                                  // 000000014118: 68740F06
	v_readlane_b32 s82, v3, 18                                 // 00000001411C: D2890052 00012503
	s_lshr_b32 s61, s82, 24                                    // 000000014124: 8F3D9852
	s_and_b32 s82, s82, 0xffffff                               // 000000014128: 8652FF52 00FFFFFF
	s_mul_i32 s82, s82, s71                                    // 000000014130: 92524752
	s_mul_i32 s61, s60, s61                                    // 000000014134: 923D3D3C
	s_add_u32 s82, s82, s61                                    // 000000014138: 80523D52
	v_mul_lo_u32 v6, v5, s82                                   // 00000001413C: D2850006 0000A505
	v_readlane_b32 s82, v3, 19                                 // 000000014144: D2890052 00012703
	s_lshr_b32 s61, s82, 24                                    // 00000001414C: 8F3D9852
	s_and_b32 s82, s82, 0xffffff                               // 000000014150: 8652FF52 00FFFFFF
	s_mul_i32 s82, s82, s71                                    // 000000014158: 92524752
	s_mul_i32 s61, s60, s61                                    // 00000001415C: 923D3D3C
	s_add_u32 s82, s82, s61                                    // 000000014160: 80523D52
	v_mul_lo_u32 v7, v4, s82                                   // 000000014164: D2850007 0000A504
	v_add_u32_e32 v59, v6, v7                                  // 00000001416C: 68760F06
	v_and_b32_e32 v4, 31, v0                                   // 000000014170: 2608009F
	v_lshrrev_b32_e32 v4, 1, v4                                // 000000014174: 20080881
	s_cmp_eq_u32 s88, 0                                        // 000000014178: BF068058
	s_cselect_b32 s61, 2, 4                                    // 00000001417C: 853D8482
	v_mul_lo_u32 v4, v4, s61                                   // 000000014180: D2850004 00007B04
	v_and_b32_e64 v5, v0, 1                                    // 000000014188: D1130005 00010300
	v_add_u32_e32 v4, v4, v5                                   // 000000014190: 68080B04
	v_lshlrev_b32_e32 v4, 2, v4                                // 000000014194: 24080882
	v_add_u32_e32 v50, v50, v4                                 // 000000014198: 68640932
	v_add_u32_e32 v51, v51, v4                                 // 00000001419C: 68660933
	v_add_u32_e32 v52, v52, v4                                 // 0000000141A0: 68680934
	v_add_u32_e32 v53, v53, v4                                 // 0000000141A4: 686A0935
	v_add_u32_e32 v54, v54, v4                                 // 0000000141A8: 686C0936
	v_add_u32_e32 v55, v55, v4                                 // 0000000141AC: 686E0937
	v_add_u32_e32 v56, v56, v4                                 // 0000000141B0: 68700938
	v_add_u32_e32 v57, v57, v4                                 // 0000000141B4: 68720939
	v_add_u32_e32 v58, v58, v4                                 // 0000000141B8: 6874093A
	v_add_u32_e32 v59, v59, v4                                 // 0000000141BC: 6876093B
	s_waitcnt lgkmcnt(0)                                       // 0000000141C0: BF8CC07F
	s_barrier                                                  // 0000000141C4: BF8A0000
	ds_read_b32 v64, v21                                       // 0000000141C8: D86C0000 40000015
	ds_read_b32 v65, v21 offset:64                             // 0000000141D0: D86C0040 41000015
	ds_read_b32 v66, v21 offset:2176                           // 0000000141D8: D86C0880 42000015
	ds_read_b32 v67, v21 offset:2240                           // 0000000141E0: D86C08C0 43000015
	ds_read_b32 v68, v21 offset:4352                           // 0000000141E8: D86C1100 44000015
	ds_read_b32 v69, v21 offset:4416                           // 0000000141F0: D86C1140 45000015
	ds_read_b32 v70, v21 offset:6528                           // 0000000141F8: D86C1980 46000015
	ds_read_b32 v71, v21 offset:6592                           // 000000014200: D86C19C0 47000015
	ds_read_b32 v72, v21 offset:8704                           // 000000014208: D86C2200 48000015
	ds_read_b32 v73, v21 offset:8768                           // 000000014210: D86C2240 49000015
	ds_read_b32 v74, v21 offset:10880                          // 000000014218: D86C2A80 4A000015
	ds_read_b32 v75, v21 offset:10944                          // 000000014220: D86C2AC0 4B000015
	ds_read_b32 v76, v21 offset:13056                          // 000000014228: D86C3300 4C000015
	ds_read_b32 v77, v21 offset:13120                          // 000000014230: D86C3340 4D000015
	ds_read_b32 v78, v21 offset:15232                          // 000000014238: D86C3B80 4E000015
	ds_read_b32 v79, v21 offset:15296                          // 000000014240: D86C3BC0 4F000015
	ds_read_b32 v80, v21 offset:17408                          // 000000014248: D86C4400 50000015
	ds_read_b32 v81, v21 offset:17472                          // 000000014250: D86C4440 51000015
	ds_read_b32 v82, v21 offset:19584                          // 000000014258: D86C4C80 52000015
	ds_read_b32 v83, v21 offset:19648                          // 000000014260: D86C4CC0 53000015
	s_waitcnt lgkmcnt(0)                                       // 000000014268: BF8CC07F
	s_mov_b32 s36, -1                                          // 00000001426C: BEA400C1
	s_mov_b32 s37, -1                                          // 000000014270: BEA500C1
	v_mov_b32_e32 v7, 0                                        // 000000014274: 7E0E0280
	s_or_b32 s9, s9, 0x40000                                   // 000000014278: 8709FF09 00040000
	s_mov_b64 exec, s[36:37]                                   // 000000014280: BEFE0124
	v_mov_b32_e32 v6, v50                                      // 000000014284: 7E0C0332
	s_mov_b64 s[60:61], 0                                      // 000000014288: BEBC0180
	v_readlane_b32 s82, v3, 0                                  // 00000001428C: D2890052 00010103
	s_and_b32 s82, s82, 0xffffff                               // 000000014294: 8652FF52 00FFFFFF
	s_cmp_lt_u32 s82, s66                                      // 00000001429C: BF0A4252
	s_cselect_b32 s20, s36, s60                                // 0000000142A0: 85143C24
	v_readlane_b32 s82, v3, 1                                  // 0000000142A4: D2890052 00010303
	s_and_b32 s82, s82, 0xffffff                               // 0000000142AC: 8652FF52 00FFFFFF
	s_cmp_lt_u32 s82, s66                                      // 0000000142B4: BF0A4252
	s_cselect_b32 s21, s36, s60                                // 0000000142B8: 85153C24
	s_mov_b64 exec, s[20:21]                                   // 0000000142BC: BEFE0114
	buffer_store_dword v64, v6, s[8:11], 0 offen               // 0000000142C0: E0701000 80024006
	buffer_store_dword v66, v6, s[8:11], 0 offen offset:128    // 0000000142C8: E0701080 80024206
	s_mov_b64 exec, s[36:37]                                   // 0000000142D0: BEFE0124
	v_mov_b32_e32 v6, v51                                      // 0000000142D4: 7E0C0333
	s_mov_b64 s[60:61], 0                                      // 0000000142D8: BEBC0180
	v_readlane_b32 s82, v3, 2                                  // 0000000142DC: D2890052 00010503
	s_and_b32 s82, s82, 0xffffff                               // 0000000142E4: 8652FF52 00FFFFFF
	s_cmp_lt_u32 s82, s66                                      // 0000000142EC: BF0A4252
	s_cselect_b32 s20, s36, s60                                // 0000000142F0: 85143C24
	v_readlane_b32 s82, v3, 3                                  // 0000000142F4: D2890052 00010703
	s_and_b32 s82, s82, 0xffffff                               // 0000000142FC: 8652FF52 00FFFFFF
	s_cmp_lt_u32 s82, s66                                      // 000000014304: BF0A4252
	s_cselect_b32 s21, s36, s60                                // 000000014308: 85153C24
	s_mov_b64 exec, s[20:21]                                   // 00000001430C: BEFE0114
	buffer_store_dword v65, v6, s[8:11], 0 offen               // 000000014310: E0701000 80024106
	buffer_store_dword v67, v6, s[8:11], 0 offen offset:128    // 000000014318: E0701080 80024306
	s_mov_b64 exec, s[36:37]                                   // 000000014320: BEFE0124
	v_mov_b32_e32 v6, v52                                      // 000000014324: 7E0C0334
	s_mov_b64 s[60:61], 0                                      // 000000014328: BEBC0180
	v_readlane_b32 s82, v3, 4                                  // 00000001432C: D2890052 00010903
	s_and_b32 s82, s82, 0xffffff                               // 000000014334: 8652FF52 00FFFFFF
	s_cmp_lt_u32 s82, s66                                      // 00000001433C: BF0A4252
	s_cselect_b32 s20, s36, s60                                // 000000014340: 85143C24
	v_readlane_b32 s82, v3, 5                                  // 000000014344: D2890052 00010B03
	s_and_b32 s82, s82, 0xffffff                               // 00000001434C: 8652FF52 00FFFFFF
	s_cmp_lt_u32 s82, s66                                      // 000000014354: BF0A4252
	s_cselect_b32 s21, s36, s60                                // 000000014358: 85153C24
	s_mov_b64 exec, s[20:21]                                   // 00000001435C: BEFE0114
	buffer_store_dword v68, v6, s[8:11], 0 offen               // 000000014360: E0701000 80024406
	buffer_store_dword v70, v6, s[8:11], 0 offen offset:128    // 000000014368: E0701080 80024606
	s_mov_b64 exec, s[36:37]                                   // 000000014370: BEFE0124
	v_mov_b32_e32 v6, v53                                      // 000000014374: 7E0C0335
	s_mov_b64 s[60:61], 0                                      // 000000014378: BEBC0180
	v_readlane_b32 s82, v3, 6                                  // 00000001437C: D2890052 00010D03
	s_and_b32 s82, s82, 0xffffff                               // 000000014384: 8652FF52 00FFFFFF
	s_cmp_lt_u32 s82, s66                                      // 00000001438C: BF0A4252
	s_cselect_b32 s20, s36, s60                                // 000000014390: 85143C24
	v_readlane_b32 s82, v3, 7                                  // 000000014394: D2890052 00010F03
	s_and_b32 s82, s82, 0xffffff                               // 00000001439C: 8652FF52 00FFFFFF
	s_cmp_lt_u32 s82, s66                                      // 0000000143A4: BF0A4252
	s_cselect_b32 s21, s36, s60                                // 0000000143A8: 85153C24
	s_mov_b64 exec, s[20:21]                                   // 0000000143AC: BEFE0114
	buffer_store_dword v69, v6, s[8:11], 0 offen               // 0000000143B0: E0701000 80024506
	buffer_store_dword v71, v6, s[8:11], 0 offen offset:128    // 0000000143B8: E0701080 80024706
	s_mov_b64 exec, s[36:37]                                   // 0000000143C0: BEFE0124
	v_mov_b32_e32 v6, v54                                      // 0000000143C4: 7E0C0336
	s_mov_b64 s[60:61], 0                                      // 0000000143C8: BEBC0180
	v_readlane_b32 s82, v3, 8                                  // 0000000143CC: D2890052 00011103
	s_and_b32 s82, s82, 0xffffff                               // 0000000143D4: 8652FF52 00FFFFFF
	s_cmp_lt_u32 s82, s66                                      // 0000000143DC: BF0A4252
	s_cselect_b32 s20, s36, s60                                // 0000000143E0: 85143C24
	v_readlane_b32 s82, v3, 9                                  // 0000000143E4: D2890052 00011303
	s_and_b32 s82, s82, 0xffffff                               // 0000000143EC: 8652FF52 00FFFFFF
	s_cmp_lt_u32 s82, s66                                      // 0000000143F4: BF0A4252
	s_cselect_b32 s21, s36, s60                                // 0000000143F8: 85153C24
	s_mov_b64 exec, s[20:21]                                   // 0000000143FC: BEFE0114
	buffer_store_dword v72, v6, s[8:11], 0 offen               // 000000014400: E0701000 80024806
	buffer_store_dword v74, v6, s[8:11], 0 offen offset:128    // 000000014408: E0701080 80024A06
	s_mov_b64 exec, s[36:37]                                   // 000000014410: BEFE0124
	v_mov_b32_e32 v6, v55                                      // 000000014414: 7E0C0337
	s_mov_b64 s[60:61], 0                                      // 000000014418: BEBC0180
	v_readlane_b32 s82, v3, 10                                 // 00000001441C: D2890052 00011503
	s_and_b32 s82, s82, 0xffffff                               // 000000014424: 8652FF52 00FFFFFF
	s_cmp_lt_u32 s82, s66                                      // 00000001442C: BF0A4252
	s_cselect_b32 s20, s36, s60                                // 000000014430: 85143C24
	v_readlane_b32 s82, v3, 11                                 // 000000014434: D2890052 00011703
	s_and_b32 s82, s82, 0xffffff                               // 00000001443C: 8652FF52 00FFFFFF
	s_cmp_lt_u32 s82, s66                                      // 000000014444: BF0A4252
	s_cselect_b32 s21, s36, s60                                // 000000014448: 85153C24
	s_mov_b64 exec, s[20:21]                                   // 00000001444C: BEFE0114
	buffer_store_dword v73, v6, s[8:11], 0 offen               // 000000014450: E0701000 80024906
	buffer_store_dword v75, v6, s[8:11], 0 offen offset:128    // 000000014458: E0701080 80024B06
	s_mov_b64 exec, s[36:37]                                   // 000000014460: BEFE0124
	v_mov_b32_e32 v6, v56                                      // 000000014464: 7E0C0338
	s_mov_b64 s[60:61], 0                                      // 000000014468: BEBC0180
	v_readlane_b32 s82, v3, 12                                 // 00000001446C: D2890052 00011903
	s_and_b32 s82, s82, 0xffffff                               // 000000014474: 8652FF52 00FFFFFF
	s_cmp_lt_u32 s82, s66                                      // 00000001447C: BF0A4252
	s_cselect_b32 s20, s36, s60                                // 000000014480: 85143C24
	v_readlane_b32 s82, v3, 13                                 // 000000014484: D2890052 00011B03
	s_and_b32 s82, s82, 0xffffff                               // 00000001448C: 8652FF52 00FFFFFF
	s_cmp_lt_u32 s82, s66                                      // 000000014494: BF0A4252
	s_cselect_b32 s21, s36, s60                                // 000000014498: 85153C24
	s_mov_b64 exec, s[20:21]                                   // 00000001449C: BEFE0114
	buffer_store_dword v76, v6, s[8:11], 0 offen               // 0000000144A0: E0701000 80024C06
	buffer_store_dword v78, v6, s[8:11], 0 offen offset:128    // 0000000144A8: E0701080 80024E06
	s_mov_b64 exec, s[36:37]                                   // 0000000144B0: BEFE0124
	v_mov_b32_e32 v6, v57                                      // 0000000144B4: 7E0C0339
	s_mov_b64 s[60:61], 0                                      // 0000000144B8: BEBC0180
	v_readlane_b32 s82, v3, 14                                 // 0000000144BC: D2890052 00011D03
	s_and_b32 s82, s82, 0xffffff                               // 0000000144C4: 8652FF52 00FFFFFF
	s_cmp_lt_u32 s82, s66                                      // 0000000144CC: BF0A4252
	s_cselect_b32 s20, s36, s60                                // 0000000144D0: 85143C24
	v_readlane_b32 s82, v3, 15                                 // 0000000144D4: D2890052 00011F03
	s_and_b32 s82, s82, 0xffffff                               // 0000000144DC: 8652FF52 00FFFFFF
	s_cmp_lt_u32 s82, s66                                      // 0000000144E4: BF0A4252
	s_cselect_b32 s21, s36, s60                                // 0000000144E8: 85153C24
	s_mov_b64 exec, s[20:21]                                   // 0000000144EC: BEFE0114
	buffer_store_dword v77, v6, s[8:11], 0 offen               // 0000000144F0: E0701000 80024D06
	buffer_store_dword v79, v6, s[8:11], 0 offen offset:128    // 0000000144F8: E0701080 80024F06
	s_mov_b64 exec, s[36:37]                                   // 000000014500: BEFE0124
	v_mov_b32_e32 v6, v58                                      // 000000014504: 7E0C033A
	s_mov_b64 s[60:61], 0                                      // 000000014508: BEBC0180
	v_readlane_b32 s82, v3, 16                                 // 00000001450C: D2890052 00012103
	s_and_b32 s82, s82, 0xffffff                               // 000000014514: 8652FF52 00FFFFFF
	s_cmp_lt_u32 s82, s66                                      // 00000001451C: BF0A4252
	s_cselect_b32 s20, s36, s60                                // 000000014520: 85143C24
	v_readlane_b32 s82, v3, 17                                 // 000000014524: D2890052 00012303
	s_and_b32 s82, s82, 0xffffff                               // 00000001452C: 8652FF52 00FFFFFF
	s_cmp_lt_u32 s82, s66                                      // 000000014534: BF0A4252
	s_cselect_b32 s21, s36, s60                                // 000000014538: 85153C24
	s_mov_b64 exec, s[20:21]                                   // 00000001453C: BEFE0114
	buffer_store_dword v80, v6, s[8:11], 0 offen               // 000000014540: E0701000 80025006
	buffer_store_dword v82, v6, s[8:11], 0 offen offset:128    // 000000014548: E0701080 80025206
	s_mov_b64 exec, s[36:37]                                   // 000000014550: BEFE0124
	v_mov_b32_e32 v6, v59                                      // 000000014554: 7E0C033B
	s_mov_b64 s[60:61], 0                                      // 000000014558: BEBC0180
	v_readlane_b32 s82, v3, 18                                 // 00000001455C: D2890052 00012503
	s_and_b32 s82, s82, 0xffffff                               // 000000014564: 8652FF52 00FFFFFF
	s_cmp_lt_u32 s82, s66                                      // 00000001456C: BF0A4252
	s_cselect_b32 s20, s36, s60                                // 000000014570: 85143C24
	v_readlane_b32 s82, v3, 19                                 // 000000014574: D2890052 00012703
	s_and_b32 s82, s82, 0xffffff                               // 00000001457C: 8652FF52 00FFFFFF
	s_cmp_lt_u32 s82, s66                                      // 000000014584: BF0A4252
	s_cselect_b32 s21, s36, s60                                // 000000014588: 85153C24
	s_mov_b64 exec, s[20:21]                                   // 00000001458C: BEFE0114
	buffer_store_dword v81, v6, s[8:11], 0 offen               // 000000014590: E0701000 80025106
	buffer_store_dword v83, v6, s[8:11], 0 offen offset:128    // 000000014598: E0701080 80025306
	s_mov_b64 exec, s[36:37]                                   // 0000000145A0: BEFE0124
	s_cmp_eq_u32 s7, 0                                         // 0000000145A4: BF068007
	s_cbranch_scc0 label_4DE4                                  // 0000000145A8: BF8406F6
	s_waitcnt vmcnt(20)                                        // 0000000145AC: BF8C4F74
	s_mov_b32 s8, s90                                          // 0000000145B0: BE88005A
	s_mov_b32 s9, s91                                          // 0000000145B4: BE89005B
	s_mul_i32 s60, s66, s71                                    // 0000000145B8: 923C4742
	s_add_u32 s8, s60, s8                                      // 0000000145BC: 8008083C
	s_addc_u32 s9, 0, s9                                       // 0000000145C0: 82090980
	s_lshr_b32 s71, s71, 5                                     // 0000000145C4: 8F478547
	s_mul_i32 s60, s66, s71                                    // 0000000145C8: 923C4742
	s_mov_b32 s10, s60                                         // 0000000145CC: BE8A003C
	s_lshr_b32 s61, s65, 5                                     // 0000000145D0: 8F3D8541
	s_mul_i32 s60, s2, 8                                       // 0000000145D4: 923C8802
	v_lshrrev_b32_e32 v4, 24, v30                              // 0000000145D8: 20083C98
	v_mul_lo_u32 v4, s61, v4                                   // 0000000145DC: D2850004 0002083D
	v_and_b32_e32 v30, 0xffffff, v30                           // 0000000145E4: 263C3CFF 00FFFFFF
	v_mul_lo_u32 v30, s71, v30                                 // 0000000145EC: D285001E 00023C47
	v_add_u32_e32 v30, v4, v30                                 // 0000000145F4: 683C3D04
	v_add_u32_e32 v30, s60, v30                                // 0000000145F8: 683C3C3C
	v_lshrrev_b32_e32 v4, 24, v31                              // 0000000145FC: 20083E98
	v_mul_lo_u32 v4, s61, v4                                   // 000000014600: D2850004 0002083D
	v_and_b32_e32 v31, 0xffffff, v31                           // 000000014608: 263E3EFF 00FFFFFF
	v_mul_lo_u32 v31, s71, v31                                 // 000000014610: D285001F 00023E47
	v_add_u32_e32 v31, v4, v31                                 // 000000014618: 683E3F04
	v_add_u32_e32 v31, s60, v31                                // 00000001461C: 683E3E3C
	v_lshrrev_b32_e32 v4, 24, v32                              // 000000014620: 20084098
	v_mul_lo_u32 v4, s61, v4                                   // 000000014624: D2850004 0002083D
	v_and_b32_e32 v32, 0xffffff, v32                           // 00000001462C: 264040FF 00FFFFFF
	v_mul_lo_u32 v32, s71, v32                                 // 000000014634: D2850020 00024047
	v_add_u32_e32 v32, v4, v32                                 // 00000001463C: 68404104
	v_add_u32_e32 v32, s60, v32                                // 000000014640: 6840403C
	v_lshrrev_b32_e32 v4, 24, v33                              // 000000014644: 20084298
	v_mul_lo_u32 v4, s61, v4                                   // 000000014648: D2850004 0002083D
	v_and_b32_e32 v33, 0xffffff, v33                           // 000000014650: 264242FF 00FFFFFF
	v_mul_lo_u32 v33, s71, v33                                 // 000000014658: D2850021 00024247
	v_add_u32_e32 v33, v4, v33                                 // 000000014660: 68424304
	v_add_u32_e32 v33, s60, v33                                // 000000014664: 6842423C
	v_lshrrev_b32_e32 v4, 24, v34                              // 000000014668: 20084498
	v_mul_lo_u32 v4, s61, v4                                   // 00000001466C: D2850004 0002083D
	v_and_b32_e32 v34, 0xffffff, v34                           // 000000014674: 264444FF 00FFFFFF
	v_mul_lo_u32 v34, s71, v34                                 // 00000001467C: D2850022 00024447
	v_add_u32_e32 v34, v4, v34                                 // 000000014684: 68444504
	v_add_u32_e32 v34, s60, v34                                // 000000014688: 6844443C
	s_mov_b64 exec, 0xffff                                     // 00000001468C: BEFE01FF 0000FFFF
	buffer_store_dword v144, v30, s[8:11], 0 offen             // 000000014694: E0701000 8002901E
	buffer_store_dword v149, v30, s[8:11], 0 offen offset:4    // 00000001469C: E0701004 8002951E
	buffer_store_dword v145, v31, s[8:11], 0 offen             // 0000000146A4: E0701000 8002911F
	buffer_store_dword v150, v31, s[8:11], 0 offen offset:4    // 0000000146AC: E0701004 8002961F
	buffer_store_dword v146, v32, s[8:11], 0 offen             // 0000000146B4: E0701000 80029220
	buffer_store_dword v151, v32, s[8:11], 0 offen offset:4    // 0000000146BC: E0701004 80029720
	buffer_store_dword v147, v33, s[8:11], 0 offen             // 0000000146C4: E0701000 80029321
	buffer_store_dword v152, v33, s[8:11], 0 offen offset:4    // 0000000146CC: E0701004 80029821
	buffer_store_dword v148, v34, s[8:11], 0 offen             // 0000000146D4: E0701000 80029422
	buffer_store_dword v153, v34, s[8:11], 0 offen offset:4    // 0000000146DC: E0701004 80029922
	s_mov_b64 exec, s[36:37]                                   // 0000000146E4: BEFE0124
	s_branch label_4DE4                                        // 0000000146E8: BF8206A6

00000000000146ec <label_473E>:
	ds_write_b64 v20, v[64:65]                                 // 0000000146EC: D89A0000 00004014
	ds_write_b64 v20, v[68:69] offset:8704                     // 0000000146F4: D89A2200 00004414
	ds_write_b64 v20, v[72:73] offset:17408                    // 0000000146FC: D89A4400 00004814
	ds_write_b64 v20, v[76:77] offset:26112                    // 000000014704: D89A6600 00004C14
	ds_write_b64 v20, v[80:81] offset:34816                    // 00000001470C: D89A8800 00005014
	ds_write_b64 v20, v[84:85] offset:2176                     // 000000014714: D89A0880 00005414
	ds_write_b64 v20, v[88:89] offset:10880                    // 00000001471C: D89A2A80 00005814
	ds_write_b64 v20, v[92:93] offset:19584                    // 000000014724: D89A4C80 00005C14
	ds_write_b64 v20, v[96:97] offset:28288                    // 00000001472C: D89A6E80 00006014
	ds_write_b64 v20, v[100:101] offset:36992                  // 000000014734: D89A9080 00006414
	ds_write_b64 v20, v[104:105] offset:4352                   // 00000001473C: D89A1100 00006814
	ds_write_b64 v20, v[108:109] offset:13056                  // 000000014744: D89A3300 00006C14
	ds_write_b64 v20, v[112:113] offset:21760                  // 00000001474C: D89A5500 00007014
	ds_write_b64 v20, v[116:117] offset:30464                  // 000000014754: D89A7700 00007414
	ds_write_b64 v20, v[120:121] offset:39168                  // 00000001475C: D89A9900 00007814
	ds_write_b64 v20, v[124:125] offset:6528                   // 000000014764: D89A1980 00007C14
	ds_write_b64 v20, v[128:129] offset:15232                  // 00000001476C: D89A3B80 00008014
	ds_write_b64 v20, v[132:133] offset:23936                  // 000000014774: D89A5D80 00008414
	ds_write_b64 v20, v[136:137] offset:32640                  // 00000001477C: D89A7F80 00008814
	ds_write_b64 v20, v[140:141] offset:41344                  // 000000014784: D89AA180 00008C14
	v_lshrrev_b32_e32 v4, 5, v0                                // 00000001478C: 20080085
	v_xor_b32_e32 v5, 1, v4                                    // 000000014790: 2A0A0881
	s_mul_i32 s60, s65, 1                                      // 000000014794: 923C8141
	s_cmp_eq_u32 s88, 0                                        // 000000014798: BF068058
	s_cselect_b32 s61, 1, 8                                    // 00000001479C: 853D8881
	s_mul_i32 s60, s61, s60                                    // 0000000147A0: 923C3C3D
	v_readlane_b32 s82, v3, 0                                  // 0000000147A4: D2890052 00010103
	s_lshr_b32 s61, s82, 24                                    // 0000000147AC: 8F3D9852
	s_and_b32 s82, s82, 0xffffff                               // 0000000147B0: 8652FF52 00FFFFFF
	s_mul_i32 s82, s82, s71                                    // 0000000147B8: 92524752
	s_mul_i32 s61, s60, s61                                    // 0000000147BC: 923D3D3C
	s_add_u32 s82, s82, s61                                    // 0000000147C0: 80523D52
	v_mul_lo_u32 v6, v5, s82                                   // 0000000147C4: D2850006 0000A505
	v_readlane_b32 s82, v3, 1                                  // 0000000147CC: D2890052 00010303
	s_lshr_b32 s61, s82, 24                                    // 0000000147D4: 8F3D9852
	s_and_b32 s82, s82, 0xffffff                               // 0000000147D8: 8652FF52 00FFFFFF
	s_mul_i32 s82, s82, s71                                    // 0000000147E0: 92524752
	s_mul_i32 s61, s60, s61                                    // 0000000147E4: 923D3D3C
	s_add_u32 s82, s82, s61                                    // 0000000147E8: 80523D52
	v_mul_lo_u32 v7, v4, s82                                   // 0000000147EC: D2850007 0000A504
	v_add_u32_e32 v50, v6, v7                                  // 0000000147F4: 68640F06
	v_readlane_b32 s82, v3, 2                                  // 0000000147F8: D2890052 00010503
	s_lshr_b32 s61, s82, 24                                    // 000000014800: 8F3D9852
	s_and_b32 s82, s82, 0xffffff                               // 000000014804: 8652FF52 00FFFFFF
	s_mul_i32 s82, s82, s71                                    // 00000001480C: 92524752
	s_mul_i32 s61, s60, s61                                    // 000000014810: 923D3D3C
	s_add_u32 s82, s82, s61                                    // 000000014814: 80523D52
	v_mul_lo_u32 v6, v5, s82                                   // 000000014818: D2850006 0000A505
	v_readlane_b32 s82, v3, 3                                  // 000000014820: D2890052 00010703
	s_lshr_b32 s61, s82, 24                                    // 000000014828: 8F3D9852
	s_and_b32 s82, s82, 0xffffff                               // 00000001482C: 8652FF52 00FFFFFF
	s_mul_i32 s82, s82, s71                                    // 000000014834: 92524752
	s_mul_i32 s61, s60, s61                                    // 000000014838: 923D3D3C
	s_add_u32 s82, s82, s61                                    // 00000001483C: 80523D52
	v_mul_lo_u32 v7, v4, s82                                   // 000000014840: D2850007 0000A504
	v_add_u32_e32 v51, v6, v7                                  // 000000014848: 68660F06
	v_readlane_b32 s82, v3, 4                                  // 00000001484C: D2890052 00010903
	s_lshr_b32 s61, s82, 24                                    // 000000014854: 8F3D9852
	s_and_b32 s82, s82, 0xffffff                               // 000000014858: 8652FF52 00FFFFFF
	s_mul_i32 s82, s82, s71                                    // 000000014860: 92524752
	s_mul_i32 s61, s60, s61                                    // 000000014864: 923D3D3C
	s_add_u32 s82, s82, s61                                    // 000000014868: 80523D52
	v_mul_lo_u32 v6, v5, s82                                   // 00000001486C: D2850006 0000A505
	v_readlane_b32 s82, v3, 5                                  // 000000014874: D2890052 00010B03
	s_lshr_b32 s61, s82, 24                                    // 00000001487C: 8F3D9852
	s_and_b32 s82, s82, 0xffffff                               // 000000014880: 8652FF52 00FFFFFF
	s_mul_i32 s82, s82, s71                                    // 000000014888: 92524752
	s_mul_i32 s61, s60, s61                                    // 00000001488C: 923D3D3C
	s_add_u32 s82, s82, s61                                    // 000000014890: 80523D52
	v_mul_lo_u32 v7, v4, s82                                   // 000000014894: D2850007 0000A504
	v_add_u32_e32 v52, v6, v7                                  // 00000001489C: 68680F06
	v_readlane_b32 s82, v3, 6                                  // 0000000148A0: D2890052 00010D03
	s_lshr_b32 s61, s82, 24                                    // 0000000148A8: 8F3D9852
	s_and_b32 s82, s82, 0xffffff                               // 0000000148AC: 8652FF52 00FFFFFF
	s_mul_i32 s82, s82, s71                                    // 0000000148B4: 92524752
	s_mul_i32 s61, s60, s61                                    // 0000000148B8: 923D3D3C
	s_add_u32 s82, s82, s61                                    // 0000000148BC: 80523D52
	v_mul_lo_u32 v6, v5, s82                                   // 0000000148C0: D2850006 0000A505
	v_readlane_b32 s82, v3, 7                                  // 0000000148C8: D2890052 00010F03
	s_lshr_b32 s61, s82, 24                                    // 0000000148D0: 8F3D9852
	s_and_b32 s82, s82, 0xffffff                               // 0000000148D4: 8652FF52 00FFFFFF
	s_mul_i32 s82, s82, s71                                    // 0000000148DC: 92524752
	s_mul_i32 s61, s60, s61                                    // 0000000148E0: 923D3D3C
	s_add_u32 s82, s82, s61                                    // 0000000148E4: 80523D52
	v_mul_lo_u32 v7, v4, s82                                   // 0000000148E8: D2850007 0000A504
	v_add_u32_e32 v53, v6, v7                                  // 0000000148F0: 686A0F06
	v_readlane_b32 s82, v3, 8                                  // 0000000148F4: D2890052 00011103
	s_lshr_b32 s61, s82, 24                                    // 0000000148FC: 8F3D9852
	s_and_b32 s82, s82, 0xffffff                               // 000000014900: 8652FF52 00FFFFFF
	s_mul_i32 s82, s82, s71                                    // 000000014908: 92524752
	s_mul_i32 s61, s60, s61                                    // 00000001490C: 923D3D3C
	s_add_u32 s82, s82, s61                                    // 000000014910: 80523D52
	v_mul_lo_u32 v6, v5, s82                                   // 000000014914: D2850006 0000A505
	v_readlane_b32 s82, v3, 9                                  // 00000001491C: D2890052 00011303
	s_lshr_b32 s61, s82, 24                                    // 000000014924: 8F3D9852
	s_and_b32 s82, s82, 0xffffff                               // 000000014928: 8652FF52 00FFFFFF
	s_mul_i32 s82, s82, s71                                    // 000000014930: 92524752
	s_mul_i32 s61, s60, s61                                    // 000000014934: 923D3D3C
	s_add_u32 s82, s82, s61                                    // 000000014938: 80523D52
	v_mul_lo_u32 v7, v4, s82                                   // 00000001493C: D2850007 0000A504
	v_add_u32_e32 v54, v6, v7                                  // 000000014944: 686C0F06
	v_readlane_b32 s82, v3, 10                                 // 000000014948: D2890052 00011503
	s_lshr_b32 s61, s82, 24                                    // 000000014950: 8F3D9852
	s_and_b32 s82, s82, 0xffffff                               // 000000014954: 8652FF52 00FFFFFF
	s_mul_i32 s82, s82, s71                                    // 00000001495C: 92524752
	s_mul_i32 s61, s60, s61                                    // 000000014960: 923D3D3C
	s_add_u32 s82, s82, s61                                    // 000000014964: 80523D52
	v_mul_lo_u32 v6, v5, s82                                   // 000000014968: D2850006 0000A505
	v_readlane_b32 s82, v3, 11                                 // 000000014970: D2890052 00011703
	s_lshr_b32 s61, s82, 24                                    // 000000014978: 8F3D9852
	s_and_b32 s82, s82, 0xffffff                               // 00000001497C: 8652FF52 00FFFFFF
	s_mul_i32 s82, s82, s71                                    // 000000014984: 92524752
	s_mul_i32 s61, s60, s61                                    // 000000014988: 923D3D3C
	s_add_u32 s82, s82, s61                                    // 00000001498C: 80523D52
	v_mul_lo_u32 v7, v4, s82                                   // 000000014990: D2850007 0000A504
	v_add_u32_e32 v55, v6, v7                                  // 000000014998: 686E0F06
	v_readlane_b32 s82, v3, 12                                 // 00000001499C: D2890052 00011903
	s_lshr_b32 s61, s82, 24                                    // 0000000149A4: 8F3D9852
	s_and_b32 s82, s82, 0xffffff                               // 0000000149A8: 8652FF52 00FFFFFF
	s_mul_i32 s82, s82, s71                                    // 0000000149B0: 92524752
	s_mul_i32 s61, s60, s61                                    // 0000000149B4: 923D3D3C
	s_add_u32 s82, s82, s61                                    // 0000000149B8: 80523D52
	v_mul_lo_u32 v6, v5, s82                                   // 0000000149BC: D2850006 0000A505
	v_readlane_b32 s82, v3, 13                                 // 0000000149C4: D2890052 00011B03
	s_lshr_b32 s61, s82, 24                                    // 0000000149CC: 8F3D9852
	s_and_b32 s82, s82, 0xffffff                               // 0000000149D0: 8652FF52 00FFFFFF
	s_mul_i32 s82, s82, s71                                    // 0000000149D8: 92524752
	s_mul_i32 s61, s60, s61                                    // 0000000149DC: 923D3D3C
	s_add_u32 s82, s82, s61                                    // 0000000149E0: 80523D52
	v_mul_lo_u32 v7, v4, s82                                   // 0000000149E4: D2850007 0000A504
	v_add_u32_e32 v56, v6, v7                                  // 0000000149EC: 68700F06
	v_readlane_b32 s82, v3, 14                                 // 0000000149F0: D2890052 00011D03
	s_lshr_b32 s61, s82, 24                                    // 0000000149F8: 8F3D9852
	s_and_b32 s82, s82, 0xffffff                               // 0000000149FC: 8652FF52 00FFFFFF
	s_mul_i32 s82, s82, s71                                    // 000000014A04: 92524752
	s_mul_i32 s61, s60, s61                                    // 000000014A08: 923D3D3C
	s_add_u32 s82, s82, s61                                    // 000000014A0C: 80523D52
	v_mul_lo_u32 v6, v5, s82                                   // 000000014A10: D2850006 0000A505
	v_readlane_b32 s82, v3, 15                                 // 000000014A18: D2890052 00011F03
	s_lshr_b32 s61, s82, 24                                    // 000000014A20: 8F3D9852
	s_and_b32 s82, s82, 0xffffff                               // 000000014A24: 8652FF52 00FFFFFF
	s_mul_i32 s82, s82, s71                                    // 000000014A2C: 92524752
	s_mul_i32 s61, s60, s61                                    // 000000014A30: 923D3D3C
	s_add_u32 s82, s82, s61                                    // 000000014A34: 80523D52
	v_mul_lo_u32 v7, v4, s82                                   // 000000014A38: D2850007 0000A504
	v_add_u32_e32 v57, v6, v7                                  // 000000014A40: 68720F06
	v_readlane_b32 s82, v3, 16                                 // 000000014A44: D2890052 00012103
	s_lshr_b32 s61, s82, 24                                    // 000000014A4C: 8F3D9852
	s_and_b32 s82, s82, 0xffffff                               // 000000014A50: 8652FF52 00FFFFFF
	s_mul_i32 s82, s82, s71                                    // 000000014A58: 92524752
	s_mul_i32 s61, s60, s61                                    // 000000014A5C: 923D3D3C
	s_add_u32 s82, s82, s61                                    // 000000014A60: 80523D52
	v_mul_lo_u32 v6, v5, s82                                   // 000000014A64: D2850006 0000A505
	v_readlane_b32 s82, v3, 17                                 // 000000014A6C: D2890052 00012303
	s_lshr_b32 s61, s82, 24                                    // 000000014A74: 8F3D9852
	s_and_b32 s82, s82, 0xffffff                               // 000000014A78: 8652FF52 00FFFFFF
	s_mul_i32 s82, s82, s71                                    // 000000014A80: 92524752
	s_mul_i32 s61, s60, s61                                    // 000000014A84: 923D3D3C
	s_add_u32 s82, s82, s61                                    // 000000014A88: 80523D52
	v_mul_lo_u32 v7, v4, s82                                   // 000000014A8C: D2850007 0000A504
	v_add_u32_e32 v58, v6, v7                                  // 000000014A94: 68740F06
	v_readlane_b32 s82, v3, 18                                 // 000000014A98: D2890052 00012503
	s_lshr_b32 s61, s82, 24                                    // 000000014AA0: 8F3D9852
	s_and_b32 s82, s82, 0xffffff                               // 000000014AA4: 8652FF52 00FFFFFF
	s_mul_i32 s82, s82, s71                                    // 000000014AAC: 92524752
	s_mul_i32 s61, s60, s61                                    // 000000014AB0: 923D3D3C
	s_add_u32 s82, s82, s61                                    // 000000014AB4: 80523D52
	v_mul_lo_u32 v6, v5, s82                                   // 000000014AB8: D2850006 0000A505
	v_readlane_b32 s82, v3, 19                                 // 000000014AC0: D2890052 00012703
	s_lshr_b32 s61, s82, 24                                    // 000000014AC8: 8F3D9852
	s_and_b32 s82, s82, 0xffffff                               // 000000014ACC: 8652FF52 00FFFFFF
	s_mul_i32 s82, s82, s71                                    // 000000014AD4: 92524752
	s_mul_i32 s61, s60, s61                                    // 000000014AD8: 923D3D3C
	s_add_u32 s82, s82, s61                                    // 000000014ADC: 80523D52
	v_mul_lo_u32 v7, v4, s82                                   // 000000014AE0: D2850007 0000A504
	v_add_u32_e32 v59, v6, v7                                  // 000000014AE8: 68760F06
	v_and_b32_e32 v4, 31, v0                                   // 000000014AEC: 2608009F
	v_lshrrev_b32_e32 v4, 1, v4                                // 000000014AF0: 20080881
	s_cmp_eq_u32 s88, 0                                        // 000000014AF4: BF068058
	s_cselect_b32 s61, 2, 4                                    // 000000014AF8: 853D8482
	v_mul_lo_u32 v4, v4, s61                                   // 000000014AFC: D2850004 00007B04
	v_and_b32_e64 v5, v0, 1                                    // 000000014B04: D1130005 00010300
	v_add_u32_e32 v4, v4, v5                                   // 000000014B0C: 68080B04
	v_lshlrev_b32_e32 v4, 2, v4                                // 000000014B10: 24080882
	v_add_u32_e32 v50, v50, v4                                 // 000000014B14: 68640932
	v_add_u32_e32 v51, v51, v4                                 // 000000014B18: 68660933
	v_add_u32_e32 v52, v52, v4                                 // 000000014B1C: 68680934
	v_add_u32_e32 v53, v53, v4                                 // 000000014B20: 686A0935
	v_add_u32_e32 v54, v54, v4                                 // 000000014B24: 686C0936
	v_add_u32_e32 v55, v55, v4                                 // 000000014B28: 686E0937
	v_add_u32_e32 v56, v56, v4                                 // 000000014B2C: 68700938
	v_add_u32_e32 v57, v57, v4                                 // 000000014B30: 68720939
	v_add_u32_e32 v58, v58, v4                                 // 000000014B34: 6874093A
	v_add_u32_e32 v59, v59, v4                                 // 000000014B38: 6876093B
	s_waitcnt lgkmcnt(0)                                       // 000000014B3C: BF8CC07F
	s_barrier                                                  // 000000014B40: BF8A0000
	ds_read_b32 v64, v21                                       // 000000014B44: D86C0000 40000015
	ds_read_b32 v65, v21 offset:64                             // 000000014B4C: D86C0040 41000015
	ds_read_b32 v68, v21 offset:2176                           // 000000014B54: D86C0880 44000015
	ds_read_b32 v69, v21 offset:2240                           // 000000014B5C: D86C08C0 45000015
	ds_read_b32 v72, v21 offset:4352                           // 000000014B64: D86C1100 48000015
	ds_read_b32 v73, v21 offset:4416                           // 000000014B6C: D86C1140 49000015
	ds_read_b32 v76, v21 offset:6528                           // 000000014B74: D86C1980 4C000015
	ds_read_b32 v77, v21 offset:6592                           // 000000014B7C: D86C19C0 4D000015
	ds_read_b32 v80, v21 offset:8704                           // 000000014B84: D86C2200 50000015
	ds_read_b32 v81, v21 offset:8768                           // 000000014B8C: D86C2240 51000015
	ds_read_b32 v84, v21 offset:10880                          // 000000014B94: D86C2A80 54000015
	ds_read_b32 v85, v21 offset:10944                          // 000000014B9C: D86C2AC0 55000015
	ds_read_b32 v88, v21 offset:13056                          // 000000014BA4: D86C3300 58000015
	ds_read_b32 v89, v21 offset:13120                          // 000000014BAC: D86C3340 59000015
	ds_read_b32 v92, v21 offset:15232                          // 000000014BB4: D86C3B80 5C000015
	ds_read_b32 v93, v21 offset:15296                          // 000000014BBC: D86C3BC0 5D000015
	ds_read_b32 v96, v21 offset:17408                          // 000000014BC4: D86C4400 60000015
	ds_read_b32 v97, v21 offset:17472                          // 000000014BCC: D86C4440 61000015
	ds_read_b32 v100, v21 offset:19584                         // 000000014BD4: D86C4C80 64000015
	ds_read_b32 v101, v21 offset:19648                         // 000000014BDC: D86C4CC0 65000015
	ds_read_b32 v104, v21 offset:21760                         // 000000014BE4: D86C5500 68000015
	ds_read_b32 v105, v21 offset:21824                         // 000000014BEC: D86C5540 69000015
	ds_read_b32 v108, v21 offset:23936                         // 000000014BF4: D86C5D80 6C000015
	ds_read_b32 v109, v21 offset:24000                         // 000000014BFC: D86C5DC0 6D000015
	ds_read_b32 v112, v21 offset:26112                         // 000000014C04: D86C6600 70000015
	ds_read_b32 v113, v21 offset:26176                         // 000000014C0C: D86C6640 71000015
	ds_read_b32 v116, v21 offset:28288                         // 000000014C14: D86C6E80 74000015
	ds_read_b32 v117, v21 offset:28352                         // 000000014C1C: D86C6EC0 75000015
	ds_read_b32 v120, v21 offset:30464                         // 000000014C24: D86C7700 78000015
	ds_read_b32 v121, v21 offset:30528                         // 000000014C2C: D86C7740 79000015
	ds_read_b32 v124, v21 offset:32640                         // 000000014C34: D86C7F80 7C000015
	ds_read_b32 v125, v21 offset:32704                         // 000000014C3C: D86C7FC0 7D000015
	ds_read_b32 v128, v21 offset:34816                         // 000000014C44: D86C8800 80000015
	ds_read_b32 v129, v21 offset:34880                         // 000000014C4C: D86C8840 81000015
	ds_read_b32 v132, v21 offset:36992                         // 000000014C54: D86C9080 84000015
	ds_read_b32 v133, v21 offset:37056                         // 000000014C5C: D86C90C0 85000015
	ds_read_b32 v136, v21 offset:39168                         // 000000014C64: D86C9900 88000015
	ds_read_b32 v137, v21 offset:39232                         // 000000014C6C: D86C9940 89000015
	ds_read_b32 v140, v21 offset:41344                         // 000000014C74: D86CA180 8C000015
	ds_read_b32 v141, v21 offset:41408                         // 000000014C7C: D86CA1C0 8D000015
	s_waitcnt lgkmcnt(0)                                       // 000000014C84: BF8CC07F
	s_mov_b32 s36, -1                                          // 000000014C88: BEA400C1
	s_mov_b32 s37, -1                                          // 000000014C8C: BEA500C1
	v_mov_b32_e32 v7, 0                                        // 000000014C90: 7E0E0280
	s_mov_b64 exec, s[36:37]                                   // 000000014C94: BEFE0124
	v_mov_b32_e32 v6, v50                                      // 000000014C98: 7E0C0332
	s_mov_b64 s[60:61], 0                                      // 000000014C9C: BEBC0180
	v_readlane_b32 s82, v3, 0                                  // 000000014CA0: D2890052 00010103
	s_and_b32 s82, s82, 0xffffff                               // 000000014CA8: 8652FF52 00FFFFFF
	s_cmp_lt_u32 s82, s66                                      // 000000014CB0: BF0A4252
	s_cselect_b32 s20, s36, s60                                // 000000014CB4: 85143C24
	v_readlane_b32 s82, v3, 1                                  // 000000014CB8: D2890052 00010303
	s_and_b32 s82, s82, 0xffffff                               // 000000014CC0: 8652FF52 00FFFFFF
	s_cmp_lt_u32 s82, s66                                      // 000000014CC8: BF0A4252
	s_cselect_b32 s21, s36, s60                                // 000000014CCC: 85153C24
	s_mov_b64 exec, s[20:21]                                   // 000000014CD0: BEFE0114
	global_atomic_add_f32 v6, v64, s[8:9]                      // 000000014CD4: DD348000 00084006
	global_atomic_add_f32 v6, v68, s[8:9] offset:256           // 000000014CDC: DD348100 00084406
	global_atomic_add_f32 v6, v72, s[8:9] offset:512           // 000000014CE4: DD348200 00084806
	global_atomic_add_f32 v6, v76, s[8:9] offset:768           // 000000014CEC: DD348300 00084C06
	s_mov_b64 exec, s[36:37]                                   // 000000014CF4: BEFE0124
	v_mov_b32_e32 v6, v51                                      // 000000014CF8: 7E0C0333
	s_mov_b64 s[60:61], 0                                      // 000000014CFC: BEBC0180
	v_readlane_b32 s82, v3, 2                                  // 000000014D00: D2890052 00010503
	s_and_b32 s82, s82, 0xffffff                               // 000000014D08: 8652FF52 00FFFFFF
	s_cmp_lt_u32 s82, s66                                      // 000000014D10: BF0A4252
	s_cselect_b32 s20, s36, s60                                // 000000014D14: 85143C24
	v_readlane_b32 s82, v3, 3                                  // 000000014D18: D2890052 00010703
	s_and_b32 s82, s82, 0xffffff                               // 000000014D20: 8652FF52 00FFFFFF
	s_cmp_lt_u32 s82, s66                                      // 000000014D28: BF0A4252
	s_cselect_b32 s21, s36, s60                                // 000000014D2C: 85153C24
	s_mov_b64 exec, s[20:21]                                   // 000000014D30: BEFE0114
	global_atomic_add_f32 v6, v65, s[8:9]                      // 000000014D34: DD348000 00084106
	global_atomic_add_f32 v6, v69, s[8:9] offset:256           // 000000014D3C: DD348100 00084506
	global_atomic_add_f32 v6, v73, s[8:9] offset:512           // 000000014D44: DD348200 00084906
	global_atomic_add_f32 v6, v77, s[8:9] offset:768           // 000000014D4C: DD348300 00084D06
	s_mov_b64 exec, s[36:37]                                   // 000000014D54: BEFE0124
	v_mov_b32_e32 v6, v52                                      // 000000014D58: 7E0C0334
	s_mov_b64 s[60:61], 0                                      // 000000014D5C: BEBC0180
	v_readlane_b32 s82, v3, 4                                  // 000000014D60: D2890052 00010903
	s_and_b32 s82, s82, 0xffffff                               // 000000014D68: 8652FF52 00FFFFFF
	s_cmp_lt_u32 s82, s66                                      // 000000014D70: BF0A4252
	s_cselect_b32 s20, s36, s60                                // 000000014D74: 85143C24
	v_readlane_b32 s82, v3, 5                                  // 000000014D78: D2890052 00010B03
	s_and_b32 s82, s82, 0xffffff                               // 000000014D80: 8652FF52 00FFFFFF
	s_cmp_lt_u32 s82, s66                                      // 000000014D88: BF0A4252
	s_cselect_b32 s21, s36, s60                                // 000000014D8C: 85153C24
	s_mov_b64 exec, s[20:21]                                   // 000000014D90: BEFE0114
	global_atomic_add_f32 v6, v80, s[8:9]                      // 000000014D94: DD348000 00085006
	global_atomic_add_f32 v6, v84, s[8:9] offset:256           // 000000014D9C: DD348100 00085406
	global_atomic_add_f32 v6, v88, s[8:9] offset:512           // 000000014DA4: DD348200 00085806
	global_atomic_add_f32 v6, v92, s[8:9] offset:768           // 000000014DAC: DD348300 00085C06
	s_mov_b64 exec, s[36:37]                                   // 000000014DB4: BEFE0124
	v_mov_b32_e32 v6, v53                                      // 000000014DB8: 7E0C0335
	s_mov_b64 s[60:61], 0                                      // 000000014DBC: BEBC0180
	v_readlane_b32 s82, v3, 6                                  // 000000014DC0: D2890052 00010D03
	s_and_b32 s82, s82, 0xffffff                               // 000000014DC8: 8652FF52 00FFFFFF
	s_cmp_lt_u32 s82, s66                                      // 000000014DD0: BF0A4252
	s_cselect_b32 s20, s36, s60                                // 000000014DD4: 85143C24
	v_readlane_b32 s82, v3, 7                                  // 000000014DD8: D2890052 00010F03
	s_and_b32 s82, s82, 0xffffff                               // 000000014DE0: 8652FF52 00FFFFFF
	s_cmp_lt_u32 s82, s66                                      // 000000014DE8: BF0A4252
	s_cselect_b32 s21, s36, s60                                // 000000014DEC: 85153C24
	s_mov_b64 exec, s[20:21]                                   // 000000014DF0: BEFE0114
	global_atomic_add_f32 v6, v81, s[8:9]                      // 000000014DF4: DD348000 00085106
	global_atomic_add_f32 v6, v85, s[8:9] offset:256           // 000000014DFC: DD348100 00085506
	global_atomic_add_f32 v6, v89, s[8:9] offset:512           // 000000014E04: DD348200 00085906
	global_atomic_add_f32 v6, v93, s[8:9] offset:768           // 000000014E0C: DD348300 00085D06
	s_mov_b64 exec, s[36:37]                                   // 000000014E14: BEFE0124
	v_mov_b32_e32 v6, v54                                      // 000000014E18: 7E0C0336
	s_mov_b64 s[60:61], 0                                      // 000000014E1C: BEBC0180
	v_readlane_b32 s82, v3, 8                                  // 000000014E20: D2890052 00011103
	s_and_b32 s82, s82, 0xffffff                               // 000000014E28: 8652FF52 00FFFFFF
	s_cmp_lt_u32 s82, s66                                      // 000000014E30: BF0A4252
	s_cselect_b32 s20, s36, s60                                // 000000014E34: 85143C24
	v_readlane_b32 s82, v3, 9                                  // 000000014E38: D2890052 00011303
	s_and_b32 s82, s82, 0xffffff                               // 000000014E40: 8652FF52 00FFFFFF
	s_cmp_lt_u32 s82, s66                                      // 000000014E48: BF0A4252
	s_cselect_b32 s21, s36, s60                                // 000000014E4C: 85153C24
	s_mov_b64 exec, s[20:21]                                   // 000000014E50: BEFE0114
	global_atomic_add_f32 v6, v96, s[8:9]                      // 000000014E54: DD348000 00086006
	global_atomic_add_f32 v6, v100, s[8:9] offset:256          // 000000014E5C: DD348100 00086406
	global_atomic_add_f32 v6, v104, s[8:9] offset:512          // 000000014E64: DD348200 00086806
	global_atomic_add_f32 v6, v108, s[8:9] offset:768          // 000000014E6C: DD348300 00086C06
	s_mov_b64 exec, s[36:37]                                   // 000000014E74: BEFE0124
	v_mov_b32_e32 v6, v55                                      // 000000014E78: 7E0C0337
	s_mov_b64 s[60:61], 0                                      // 000000014E7C: BEBC0180
	v_readlane_b32 s82, v3, 10                                 // 000000014E80: D2890052 00011503
	s_and_b32 s82, s82, 0xffffff                               // 000000014E88: 8652FF52 00FFFFFF
	s_cmp_lt_u32 s82, s66                                      // 000000014E90: BF0A4252
	s_cselect_b32 s20, s36, s60                                // 000000014E94: 85143C24
	v_readlane_b32 s82, v3, 11                                 // 000000014E98: D2890052 00011703
	s_and_b32 s82, s82, 0xffffff                               // 000000014EA0: 8652FF52 00FFFFFF
	s_cmp_lt_u32 s82, s66                                      // 000000014EA8: BF0A4252
	s_cselect_b32 s21, s36, s60                                // 000000014EAC: 85153C24
	s_mov_b64 exec, s[20:21]                                   // 000000014EB0: BEFE0114
	global_atomic_add_f32 v6, v97, s[8:9]                      // 000000014EB4: DD348000 00086106
	global_atomic_add_f32 v6, v101, s[8:9] offset:256          // 000000014EBC: DD348100 00086506
	global_atomic_add_f32 v6, v105, s[8:9] offset:512          // 000000014EC4: DD348200 00086906
	global_atomic_add_f32 v6, v109, s[8:9] offset:768          // 000000014ECC: DD348300 00086D06
	s_mov_b64 exec, s[36:37]                                   // 000000014ED4: BEFE0124
	v_mov_b32_e32 v6, v56                                      // 000000014ED8: 7E0C0338
	s_mov_b64 s[60:61], 0                                      // 000000014EDC: BEBC0180
	v_readlane_b32 s82, v3, 12                                 // 000000014EE0: D2890052 00011903
	s_and_b32 s82, s82, 0xffffff                               // 000000014EE8: 8652FF52 00FFFFFF
	s_cmp_lt_u32 s82, s66                                      // 000000014EF0: BF0A4252
	s_cselect_b32 s20, s36, s60                                // 000000014EF4: 85143C24
	v_readlane_b32 s82, v3, 13                                 // 000000014EF8: D2890052 00011B03
	s_and_b32 s82, s82, 0xffffff                               // 000000014F00: 8652FF52 00FFFFFF
	s_cmp_lt_u32 s82, s66                                      // 000000014F08: BF0A4252
	s_cselect_b32 s21, s36, s60                                // 000000014F0C: 85153C24
	s_mov_b64 exec, s[20:21]                                   // 000000014F10: BEFE0114
	global_atomic_add_f32 v6, v112, s[8:9]                     // 000000014F14: DD348000 00087006
	global_atomic_add_f32 v6, v116, s[8:9] offset:256          // 000000014F1C: DD348100 00087406
	global_atomic_add_f32 v6, v120, s[8:9] offset:512          // 000000014F24: DD348200 00087806
	global_atomic_add_f32 v6, v124, s[8:9] offset:768          // 000000014F2C: DD348300 00087C06
	s_mov_b64 exec, s[36:37]                                   // 000000014F34: BEFE0124
	v_mov_b32_e32 v6, v57                                      // 000000014F38: 7E0C0339
	s_mov_b64 s[60:61], 0                                      // 000000014F3C: BEBC0180
	v_readlane_b32 s82, v3, 14                                 // 000000014F40: D2890052 00011D03
	s_and_b32 s82, s82, 0xffffff                               // 000000014F48: 8652FF52 00FFFFFF
	s_cmp_lt_u32 s82, s66                                      // 000000014F50: BF0A4252
	s_cselect_b32 s20, s36, s60                                // 000000014F54: 85143C24
	v_readlane_b32 s82, v3, 15                                 // 000000014F58: D2890052 00011F03
	s_and_b32 s82, s82, 0xffffff                               // 000000014F60: 8652FF52 00FFFFFF
	s_cmp_lt_u32 s82, s66                                      // 000000014F68: BF0A4252
	s_cselect_b32 s21, s36, s60                                // 000000014F6C: 85153C24
	s_mov_b64 exec, s[20:21]                                   // 000000014F70: BEFE0114
	global_atomic_add_f32 v6, v113, s[8:9]                     // 000000014F74: DD348000 00087106
	global_atomic_add_f32 v6, v117, s[8:9] offset:256          // 000000014F7C: DD348100 00087506
	global_atomic_add_f32 v6, v121, s[8:9] offset:512          // 000000014F84: DD348200 00087906
	global_atomic_add_f32 v6, v125, s[8:9] offset:768          // 000000014F8C: DD348300 00087D06
	s_mov_b64 exec, s[36:37]                                   // 000000014F94: BEFE0124
	v_mov_b32_e32 v6, v58                                      // 000000014F98: 7E0C033A
	s_mov_b64 s[60:61], 0                                      // 000000014F9C: BEBC0180
	v_readlane_b32 s82, v3, 16                                 // 000000014FA0: D2890052 00012103
	s_and_b32 s82, s82, 0xffffff                               // 000000014FA8: 8652FF52 00FFFFFF
	s_cmp_lt_u32 s82, s66                                      // 000000014FB0: BF0A4252
	s_cselect_b32 s20, s36, s60                                // 000000014FB4: 85143C24
	v_readlane_b32 s82, v3, 17                                 // 000000014FB8: D2890052 00012303
	s_and_b32 s82, s82, 0xffffff                               // 000000014FC0: 8652FF52 00FFFFFF
	s_cmp_lt_u32 s82, s66                                      // 000000014FC8: BF0A4252
	s_cselect_b32 s21, s36, s60                                // 000000014FCC: 85153C24
	s_mov_b64 exec, s[20:21]                                   // 000000014FD0: BEFE0114
	global_atomic_add_f32 v6, v128, s[8:9]                     // 000000014FD4: DD348000 00088006
	global_atomic_add_f32 v6, v132, s[8:9] offset:256          // 000000014FDC: DD348100 00088406
	global_atomic_add_f32 v6, v136, s[8:9] offset:512          // 000000014FE4: DD348200 00088806
	global_atomic_add_f32 v6, v140, s[8:9] offset:768          // 000000014FEC: DD348300 00088C06
	s_mov_b64 exec, s[36:37]                                   // 000000014FF4: BEFE0124
	v_mov_b32_e32 v6, v59                                      // 000000014FF8: 7E0C033B
	s_mov_b64 s[60:61], 0                                      // 000000014FFC: BEBC0180
	v_readlane_b32 s82, v3, 18                                 // 000000015000: D2890052 00012503
	s_and_b32 s82, s82, 0xffffff                               // 000000015008: 8652FF52 00FFFFFF
	s_cmp_lt_u32 s82, s66                                      // 000000015010: BF0A4252
	s_cselect_b32 s20, s36, s60                                // 000000015014: 85143C24
	v_readlane_b32 s82, v3, 19                                 // 000000015018: D2890052 00012703
	s_and_b32 s82, s82, 0xffffff                               // 000000015020: 8652FF52 00FFFFFF
	s_cmp_lt_u32 s82, s66                                      // 000000015028: BF0A4252
	s_cselect_b32 s21, s36, s60                                // 00000001502C: 85153C24
	s_mov_b64 exec, s[20:21]                                   // 000000015030: BEFE0114
	global_atomic_add_f32 v6, v129, s[8:9]                     // 000000015034: DD348000 00088106
	global_atomic_add_f32 v6, v133, s[8:9] offset:256          // 00000001503C: DD348100 00088506
	global_atomic_add_f32 v6, v137, s[8:9] offset:512          // 000000015044: DD348200 00088906
	global_atomic_add_f32 v6, v141, s[8:9] offset:768          // 00000001504C: DD348300 00088D06
	s_mov_b64 exec, s[36:37]                                   // 000000015054: BEFE0124
	ds_write_b64 v20, v[66:67]                                 // 000000015058: D89A0000 00004214
	ds_write_b64 v20, v[70:71] offset:8704                     // 000000015060: D89A2200 00004614
	ds_write_b64 v20, v[74:75] offset:17408                    // 000000015068: D89A4400 00004A14
	ds_write_b64 v20, v[78:79] offset:26112                    // 000000015070: D89A6600 00004E14
	ds_write_b64 v20, v[82:83] offset:34816                    // 000000015078: D89A8800 00005214
	ds_write_b64 v20, v[86:87] offset:2176                     // 000000015080: D89A0880 00005614
	ds_write_b64 v20, v[90:91] offset:10880                    // 000000015088: D89A2A80 00005A14
	ds_write_b64 v20, v[94:95] offset:19584                    // 000000015090: D89A4C80 00005E14
	ds_write_b64 v20, v[98:99] offset:28288                    // 000000015098: D89A6E80 00006214
	ds_write_b64 v20, v[102:103] offset:36992                  // 0000000150A0: D89A9080 00006614
	ds_write_b64 v20, v[106:107] offset:4352                   // 0000000150A8: D89A1100 00006A14
	ds_write_b64 v20, v[110:111] offset:13056                  // 0000000150B0: D89A3300 00006E14
	ds_write_b64 v20, v[114:115] offset:21760                  // 0000000150B8: D89A5500 00007214
	ds_write_b64 v20, v[118:119] offset:30464                  // 0000000150C0: D89A7700 00007614
	ds_write_b64 v20, v[122:123] offset:39168                  // 0000000150C8: D89A9900 00007A14
	ds_write_b64 v20, v[126:127] offset:6528                   // 0000000150D0: D89A1980 00007E14
	ds_write_b64 v20, v[130:131] offset:15232                  // 0000000150D8: D89A3B80 00008214
	ds_write_b64 v20, v[134:135] offset:23936                  // 0000000150E0: D89A5D80 00008614
	ds_write_b64 v20, v[138:139] offset:32640                  // 0000000150E8: D89A7F80 00008A14
	ds_write_b64 v20, v[142:143] offset:41344                  // 0000000150F0: D89AA180 00008E14
	s_waitcnt lgkmcnt(0)                                       // 0000000150F8: BF8CC07F
	s_barrier                                                  // 0000000150FC: BF8A0000
	ds_read_b32 v66, v21                                       // 000000015100: D86C0000 42000015
	ds_read_b32 v67, v21 offset:64                             // 000000015108: D86C0040 43000015
	ds_read_b32 v70, v21 offset:2176                           // 000000015110: D86C0880 46000015
	ds_read_b32 v71, v21 offset:2240                           // 000000015118: D86C08C0 47000015
	ds_read_b32 v74, v21 offset:4352                           // 000000015120: D86C1100 4A000015
	ds_read_b32 v75, v21 offset:4416                           // 000000015128: D86C1140 4B000015
	ds_read_b32 v78, v21 offset:6528                           // 000000015130: D86C1980 4E000015
	ds_read_b32 v79, v21 offset:6592                           // 000000015138: D86C19C0 4F000015
	ds_read_b32 v82, v21 offset:8704                           // 000000015140: D86C2200 52000015
	ds_read_b32 v83, v21 offset:8768                           // 000000015148: D86C2240 53000015
	ds_read_b32 v86, v21 offset:10880                          // 000000015150: D86C2A80 56000015
	ds_read_b32 v87, v21 offset:10944                          // 000000015158: D86C2AC0 57000015
	ds_read_b32 v90, v21 offset:13056                          // 000000015160: D86C3300 5A000015
	ds_read_b32 v91, v21 offset:13120                          // 000000015168: D86C3340 5B000015
	ds_read_b32 v94, v21 offset:15232                          // 000000015170: D86C3B80 5E000015
	ds_read_b32 v95, v21 offset:15296                          // 000000015178: D86C3BC0 5F000015
	ds_read_b32 v98, v21 offset:17408                          // 000000015180: D86C4400 62000015
	ds_read_b32 v99, v21 offset:17472                          // 000000015188: D86C4440 63000015
	ds_read_b32 v102, v21 offset:19584                         // 000000015190: D86C4C80 66000015
	ds_read_b32 v103, v21 offset:19648                         // 000000015198: D86C4CC0 67000015
	ds_read_b32 v106, v21 offset:21760                         // 0000000151A0: D86C5500 6A000015
	ds_read_b32 v107, v21 offset:21824                         // 0000000151A8: D86C5540 6B000015
	ds_read_b32 v110, v21 offset:23936                         // 0000000151B0: D86C5D80 6E000015
	ds_read_b32 v111, v21 offset:24000                         // 0000000151B8: D86C5DC0 6F000015
	ds_read_b32 v114, v21 offset:26112                         // 0000000151C0: D86C6600 72000015
	ds_read_b32 v115, v21 offset:26176                         // 0000000151C8: D86C6640 73000015
	ds_read_b32 v118, v21 offset:28288                         // 0000000151D0: D86C6E80 76000015
	ds_read_b32 v119, v21 offset:28352                         // 0000000151D8: D86C6EC0 77000015
	ds_read_b32 v122, v21 offset:30464                         // 0000000151E0: D86C7700 7A000015
	ds_read_b32 v123, v21 offset:30528                         // 0000000151E8: D86C7740 7B000015
	ds_read_b32 v126, v21 offset:32640                         // 0000000151F0: D86C7F80 7E000015
	ds_read_b32 v127, v21 offset:32704                         // 0000000151F8: D86C7FC0 7F000015
	ds_read_b32 v130, v21 offset:34816                         // 000000015200: D86C8800 82000015
	ds_read_b32 v131, v21 offset:34880                         // 000000015208: D86C8840 83000015
	ds_read_b32 v134, v21 offset:36992                         // 000000015210: D86C9080 86000015
	ds_read_b32 v135, v21 offset:37056                         // 000000015218: D86C90C0 87000015
	ds_read_b32 v138, v21 offset:39168                         // 000000015220: D86C9900 8A000015
	ds_read_b32 v139, v21 offset:39232                         // 000000015228: D86C9940 8B000015
	ds_read_b32 v142, v21 offset:41344                         // 000000015230: D86CA180 8E000015
	ds_read_b32 v143, v21 offset:41408                         // 000000015238: D86CA1C0 8F000015
	s_waitcnt lgkmcnt(0)                                       // 000000015240: BF8CC07F
	v_mov_b32_e32 v7, 0                                        // 000000015244: 7E0E0280
	s_mov_b64 exec, s[36:37]                                   // 000000015248: BEFE0124
	v_mov_b32_e32 v6, v50                                      // 00000001524C: 7E0C0332
	s_mov_b64 s[60:61], 0                                      // 000000015250: BEBC0180
	v_readlane_b32 s82, v3, 0                                  // 000000015254: D2890052 00010103
	s_and_b32 s82, s82, 0xffffff                               // 00000001525C: 8652FF52 00FFFFFF
	s_cmp_lt_u32 s82, s66                                      // 000000015264: BF0A4252
	s_cselect_b32 s20, s36, s60                                // 000000015268: 85143C24
	v_readlane_b32 s82, v3, 1                                  // 00000001526C: D2890052 00010303
	s_and_b32 s82, s82, 0xffffff                               // 000000015274: 8652FF52 00FFFFFF
	s_cmp_lt_u32 s82, s66                                      // 00000001527C: BF0A4252
	s_cselect_b32 s21, s36, s60                                // 000000015280: 85153C24
	s_mov_b64 exec, s[20:21]                                   // 000000015284: BEFE0114
	global_atomic_add_f32 v6, v66, s[8:9] offset:8             // 000000015288: DD348008 00084206
	global_atomic_add_f32 v6, v70, s[8:9] offset:264           // 000000015290: DD348108 00084606
	global_atomic_add_f32 v6, v74, s[8:9] offset:520           // 000000015298: DD348208 00084A06
	global_atomic_add_f32 v6, v78, s[8:9] offset:776           // 0000000152A0: DD348308 00084E06
	s_mov_b64 exec, s[36:37]                                   // 0000000152A8: BEFE0124
	v_mov_b32_e32 v6, v51                                      // 0000000152AC: 7E0C0333
	s_mov_b64 s[60:61], 0                                      // 0000000152B0: BEBC0180
	v_readlane_b32 s82, v3, 2                                  // 0000000152B4: D2890052 00010503
	s_and_b32 s82, s82, 0xffffff                               // 0000000152BC: 8652FF52 00FFFFFF
	s_cmp_lt_u32 s82, s66                                      // 0000000152C4: BF0A4252
	s_cselect_b32 s20, s36, s60                                // 0000000152C8: 85143C24
	v_readlane_b32 s82, v3, 3                                  // 0000000152CC: D2890052 00010703
	s_and_b32 s82, s82, 0xffffff                               // 0000000152D4: 8652FF52 00FFFFFF
	s_cmp_lt_u32 s82, s66                                      // 0000000152DC: BF0A4252
	s_cselect_b32 s21, s36, s60                                // 0000000152E0: 85153C24
	s_mov_b64 exec, s[20:21]                                   // 0000000152E4: BEFE0114
	global_atomic_add_f32 v6, v67, s[8:9] offset:8             // 0000000152E8: DD348008 00084306
	global_atomic_add_f32 v6, v71, s[8:9] offset:264           // 0000000152F0: DD348108 00084706
	global_atomic_add_f32 v6, v75, s[8:9] offset:520           // 0000000152F8: DD348208 00084B06
	global_atomic_add_f32 v6, v79, s[8:9] offset:776           // 000000015300: DD348308 00084F06
	s_mov_b64 exec, s[36:37]                                   // 000000015308: BEFE0124
	v_mov_b32_e32 v6, v52                                      // 00000001530C: 7E0C0334
	s_mov_b64 s[60:61], 0                                      // 000000015310: BEBC0180
	v_readlane_b32 s82, v3, 4                                  // 000000015314: D2890052 00010903
	s_and_b32 s82, s82, 0xffffff                               // 00000001531C: 8652FF52 00FFFFFF
	s_cmp_lt_u32 s82, s66                                      // 000000015324: BF0A4252
	s_cselect_b32 s20, s36, s60                                // 000000015328: 85143C24
	v_readlane_b32 s82, v3, 5                                  // 00000001532C: D2890052 00010B03
	s_and_b32 s82, s82, 0xffffff                               // 000000015334: 8652FF52 00FFFFFF
	s_cmp_lt_u32 s82, s66                                      // 00000001533C: BF0A4252
	s_cselect_b32 s21, s36, s60                                // 000000015340: 85153C24
	s_mov_b64 exec, s[20:21]                                   // 000000015344: BEFE0114
	global_atomic_add_f32 v6, v82, s[8:9] offset:8             // 000000015348: DD348008 00085206
	global_atomic_add_f32 v6, v86, s[8:9] offset:264           // 000000015350: DD348108 00085606
	global_atomic_add_f32 v6, v90, s[8:9] offset:520           // 000000015358: DD348208 00085A06
	global_atomic_add_f32 v6, v94, s[8:9] offset:776           // 000000015360: DD348308 00085E06
	s_mov_b64 exec, s[36:37]                                   // 000000015368: BEFE0124
	v_mov_b32_e32 v6, v53                                      // 00000001536C: 7E0C0335
	s_mov_b64 s[60:61], 0                                      // 000000015370: BEBC0180
	v_readlane_b32 s82, v3, 6                                  // 000000015374: D2890052 00010D03
	s_and_b32 s82, s82, 0xffffff                               // 00000001537C: 8652FF52 00FFFFFF
	s_cmp_lt_u32 s82, s66                                      // 000000015384: BF0A4252
	s_cselect_b32 s20, s36, s60                                // 000000015388: 85143C24
	v_readlane_b32 s82, v3, 7                                  // 00000001538C: D2890052 00010F03
	s_and_b32 s82, s82, 0xffffff                               // 000000015394: 8652FF52 00FFFFFF
	s_cmp_lt_u32 s82, s66                                      // 00000001539C: BF0A4252
	s_cselect_b32 s21, s36, s60                                // 0000000153A0: 85153C24
	s_mov_b64 exec, s[20:21]                                   // 0000000153A4: BEFE0114
	global_atomic_add_f32 v6, v83, s[8:9] offset:8             // 0000000153A8: DD348008 00085306
	global_atomic_add_f32 v6, v87, s[8:9] offset:264           // 0000000153B0: DD348108 00085706
	global_atomic_add_f32 v6, v91, s[8:9] offset:520           // 0000000153B8: DD348208 00085B06
	global_atomic_add_f32 v6, v95, s[8:9] offset:776           // 0000000153C0: DD348308 00085F06
	s_mov_b64 exec, s[36:37]                                   // 0000000153C8: BEFE0124
	v_mov_b32_e32 v6, v54                                      // 0000000153CC: 7E0C0336
	s_mov_b64 s[60:61], 0                                      // 0000000153D0: BEBC0180
	v_readlane_b32 s82, v3, 8                                  // 0000000153D4: D2890052 00011103
	s_and_b32 s82, s82, 0xffffff                               // 0000000153DC: 8652FF52 00FFFFFF
	s_cmp_lt_u32 s82, s66                                      // 0000000153E4: BF0A4252
	s_cselect_b32 s20, s36, s60                                // 0000000153E8: 85143C24
	v_readlane_b32 s82, v3, 9                                  // 0000000153EC: D2890052 00011303
	s_and_b32 s82, s82, 0xffffff                               // 0000000153F4: 8652FF52 00FFFFFF
	s_cmp_lt_u32 s82, s66                                      // 0000000153FC: BF0A4252
	s_cselect_b32 s21, s36, s60                                // 000000015400: 85153C24
	s_mov_b64 exec, s[20:21]                                   // 000000015404: BEFE0114
	global_atomic_add_f32 v6, v98, s[8:9] offset:8             // 000000015408: DD348008 00086206
	global_atomic_add_f32 v6, v102, s[8:9] offset:264          // 000000015410: DD348108 00086606
	global_atomic_add_f32 v6, v106, s[8:9] offset:520          // 000000015418: DD348208 00086A06
	global_atomic_add_f32 v6, v110, s[8:9] offset:776          // 000000015420: DD348308 00086E06
	s_mov_b64 exec, s[36:37]                                   // 000000015428: BEFE0124
	v_mov_b32_e32 v6, v55                                      // 00000001542C: 7E0C0337
	s_mov_b64 s[60:61], 0                                      // 000000015430: BEBC0180
	v_readlane_b32 s82, v3, 10                                 // 000000015434: D2890052 00011503
	s_and_b32 s82, s82, 0xffffff                               // 00000001543C: 8652FF52 00FFFFFF
	s_cmp_lt_u32 s82, s66                                      // 000000015444: BF0A4252
	s_cselect_b32 s20, s36, s60                                // 000000015448: 85143C24
	v_readlane_b32 s82, v3, 11                                 // 00000001544C: D2890052 00011703
	s_and_b32 s82, s82, 0xffffff                               // 000000015454: 8652FF52 00FFFFFF
	s_cmp_lt_u32 s82, s66                                      // 00000001545C: BF0A4252
	s_cselect_b32 s21, s36, s60                                // 000000015460: 85153C24
	s_mov_b64 exec, s[20:21]                                   // 000000015464: BEFE0114
	global_atomic_add_f32 v6, v99, s[8:9] offset:8             // 000000015468: DD348008 00086306
	global_atomic_add_f32 v6, v103, s[8:9] offset:264          // 000000015470: DD348108 00086706
	global_atomic_add_f32 v6, v107, s[8:9] offset:520          // 000000015478: DD348208 00086B06
	global_atomic_add_f32 v6, v111, s[8:9] offset:776          // 000000015480: DD348308 00086F06
	s_mov_b64 exec, s[36:37]                                   // 000000015488: BEFE0124
	v_mov_b32_e32 v6, v56                                      // 00000001548C: 7E0C0338
	s_mov_b64 s[60:61], 0                                      // 000000015490: BEBC0180
	v_readlane_b32 s82, v3, 12                                 // 000000015494: D2890052 00011903
	s_and_b32 s82, s82, 0xffffff                               // 00000001549C: 8652FF52 00FFFFFF
	s_cmp_lt_u32 s82, s66                                      // 0000000154A4: BF0A4252
	s_cselect_b32 s20, s36, s60                                // 0000000154A8: 85143C24
	v_readlane_b32 s82, v3, 13                                 // 0000000154AC: D2890052 00011B03
	s_and_b32 s82, s82, 0xffffff                               // 0000000154B4: 8652FF52 00FFFFFF
	s_cmp_lt_u32 s82, s66                                      // 0000000154BC: BF0A4252
	s_cselect_b32 s21, s36, s60                                // 0000000154C0: 85153C24
	s_mov_b64 exec, s[20:21]                                   // 0000000154C4: BEFE0114
	global_atomic_add_f32 v6, v114, s[8:9] offset:8            // 0000000154C8: DD348008 00087206
	global_atomic_add_f32 v6, v118, s[8:9] offset:264          // 0000000154D0: DD348108 00087606
	global_atomic_add_f32 v6, v122, s[8:9] offset:520          // 0000000154D8: DD348208 00087A06
	global_atomic_add_f32 v6, v126, s[8:9] offset:776          // 0000000154E0: DD348308 00087E06
	s_mov_b64 exec, s[36:37]                                   // 0000000154E8: BEFE0124
	v_mov_b32_e32 v6, v57                                      // 0000000154EC: 7E0C0339
	s_mov_b64 s[60:61], 0                                      // 0000000154F0: BEBC0180
	v_readlane_b32 s82, v3, 14                                 // 0000000154F4: D2890052 00011D03
	s_and_b32 s82, s82, 0xffffff                               // 0000000154FC: 8652FF52 00FFFFFF
	s_cmp_lt_u32 s82, s66                                      // 000000015504: BF0A4252
	s_cselect_b32 s20, s36, s60                                // 000000015508: 85143C24
	v_readlane_b32 s82, v3, 15                                 // 00000001550C: D2890052 00011F03
	s_and_b32 s82, s82, 0xffffff                               // 000000015514: 8652FF52 00FFFFFF
	s_cmp_lt_u32 s82, s66                                      // 00000001551C: BF0A4252
	s_cselect_b32 s21, s36, s60                                // 000000015520: 85153C24
	s_mov_b64 exec, s[20:21]                                   // 000000015524: BEFE0114
	global_atomic_add_f32 v6, v115, s[8:9] offset:8            // 000000015528: DD348008 00087306
	global_atomic_add_f32 v6, v119, s[8:9] offset:264          // 000000015530: DD348108 00087706
	global_atomic_add_f32 v6, v123, s[8:9] offset:520          // 000000015538: DD348208 00087B06
	global_atomic_add_f32 v6, v127, s[8:9] offset:776          // 000000015540: DD348308 00087F06
	s_mov_b64 exec, s[36:37]                                   // 000000015548: BEFE0124
	v_mov_b32_e32 v6, v58                                      // 00000001554C: 7E0C033A
	s_mov_b64 s[60:61], 0                                      // 000000015550: BEBC0180
	v_readlane_b32 s82, v3, 16                                 // 000000015554: D2890052 00012103
	s_and_b32 s82, s82, 0xffffff                               // 00000001555C: 8652FF52 00FFFFFF
	s_cmp_lt_u32 s82, s66                                      // 000000015564: BF0A4252
	s_cselect_b32 s20, s36, s60                                // 000000015568: 85143C24
	v_readlane_b32 s82, v3, 17                                 // 00000001556C: D2890052 00012303
	s_and_b32 s82, s82, 0xffffff                               // 000000015574: 8652FF52 00FFFFFF
	s_cmp_lt_u32 s82, s66                                      // 00000001557C: BF0A4252
	s_cselect_b32 s21, s36, s60                                // 000000015580: 85153C24
	s_mov_b64 exec, s[20:21]                                   // 000000015584: BEFE0114
	global_atomic_add_f32 v6, v130, s[8:9] offset:8            // 000000015588: DD348008 00088206
	global_atomic_add_f32 v6, v134, s[8:9] offset:264          // 000000015590: DD348108 00088606
	global_atomic_add_f32 v6, v138, s[8:9] offset:520          // 000000015598: DD348208 00088A06
	global_atomic_add_f32 v6, v142, s[8:9] offset:776          // 0000000155A0: DD348308 00088E06
	s_mov_b64 exec, s[36:37]                                   // 0000000155A8: BEFE0124
	v_mov_b32_e32 v6, v59                                      // 0000000155AC: 7E0C033B
	s_mov_b64 s[60:61], 0                                      // 0000000155B0: BEBC0180
	v_readlane_b32 s82, v3, 18                                 // 0000000155B4: D2890052 00012503
	s_and_b32 s82, s82, 0xffffff                               // 0000000155BC: 8652FF52 00FFFFFF
	s_cmp_lt_u32 s82, s66                                      // 0000000155C4: BF0A4252
	s_cselect_b32 s20, s36, s60                                // 0000000155C8: 85143C24
	v_readlane_b32 s82, v3, 19                                 // 0000000155CC: D2890052 00012703
	s_and_b32 s82, s82, 0xffffff                               // 0000000155D4: 8652FF52 00FFFFFF
	s_cmp_lt_u32 s82, s66                                      // 0000000155DC: BF0A4252
	s_cselect_b32 s21, s36, s60                                // 0000000155E0: 85153C24
	s_mov_b64 exec, s[20:21]                                   // 0000000155E4: BEFE0114
	global_atomic_add_f32 v6, v131, s[8:9] offset:8            // 0000000155E8: DD348008 00088306
	global_atomic_add_f32 v6, v135, s[8:9] offset:264          // 0000000155F0: DD348108 00088706
	global_atomic_add_f32 v6, v139, s[8:9] offset:520          // 0000000155F8: DD348208 00088B06
	global_atomic_add_f32 v6, v143, s[8:9] offset:776          // 000000015600: DD348308 00088F06
	s_mov_b64 exec, s[36:37]                                   // 000000015608: BEFE0124
	ds_write_b64 v20, v[144:145]                               // 00000001560C: D89A0000 00009014
	ds_write_b64 v20, v[148:149] offset:8704                   // 000000015614: D89A2200 00009414
	ds_write_b64 v20, v[152:153] offset:17408                  // 00000001561C: D89A4400 00009814
	ds_write_b64 v20, v[156:157] offset:26112                  // 000000015624: D89A6600 00009C14
	ds_write_b64 v20, v[160:161] offset:34816                  // 00000001562C: D89A8800 0000A014
	ds_write_b64 v20, v[164:165] offset:2176                   // 000000015634: D89A0880 0000A414
	ds_write_b64 v20, v[168:169] offset:10880                  // 00000001563C: D89A2A80 0000A814
	ds_write_b64 v20, v[172:173] offset:19584                  // 000000015644: D89A4C80 0000AC14
	ds_write_b64 v20, v[176:177] offset:28288                  // 00000001564C: D89A6E80 0000B014
	ds_write_b64 v20, v[180:181] offset:36992                  // 000000015654: D89A9080 0000B414
	ds_write_b64 v20, v[184:185] offset:4352                   // 00000001565C: D89A1100 0000B814
	ds_write_b64 v20, v[188:189] offset:13056                  // 000000015664: D89A3300 0000BC14
	ds_write_b64 v20, v[192:193] offset:21760                  // 00000001566C: D89A5500 0000C014
	ds_write_b64 v20, v[196:197] offset:30464                  // 000000015674: D89A7700 0000C414
	ds_write_b64 v20, v[200:201] offset:39168                  // 00000001567C: D89A9900 0000C814
	ds_write_b64 v20, v[204:205] offset:6528                   // 000000015684: D89A1980 0000CC14
	ds_write_b64 v20, v[208:209] offset:15232                  // 00000001568C: D89A3B80 0000D014
	ds_write_b64 v20, v[212:213] offset:23936                  // 000000015694: D89A5D80 0000D414
	ds_write_b64 v20, v[216:217] offset:32640                  // 00000001569C: D89A7F80 0000D814
	ds_write_b64 v20, v[220:221] offset:41344                  // 0000000156A4: D89AA180 0000DC14
	s_waitcnt lgkmcnt(0)                                       // 0000000156AC: BF8CC07F
	s_barrier                                                  // 0000000156B0: BF8A0000
	ds_read_b32 v144, v21                                      // 0000000156B4: D86C0000 90000015
	ds_read_b32 v145, v21 offset:64                            // 0000000156BC: D86C0040 91000015
	ds_read_b32 v148, v21 offset:2176                          // 0000000156C4: D86C0880 94000015
	ds_read_b32 v149, v21 offset:2240                          // 0000000156CC: D86C08C0 95000015
	ds_read_b32 v152, v21 offset:4352                          // 0000000156D4: D86C1100 98000015
	ds_read_b32 v153, v21 offset:4416                          // 0000000156DC: D86C1140 99000015
	ds_read_b32 v156, v21 offset:6528                          // 0000000156E4: D86C1980 9C000015
	ds_read_b32 v157, v21 offset:6592                          // 0000000156EC: D86C19C0 9D000015
	ds_read_b32 v160, v21 offset:8704                          // 0000000156F4: D86C2200 A0000015
	ds_read_b32 v161, v21 offset:8768                          // 0000000156FC: D86C2240 A1000015
	ds_read_b32 v164, v21 offset:10880                         // 000000015704: D86C2A80 A4000015
	ds_read_b32 v165, v21 offset:10944                         // 00000001570C: D86C2AC0 A5000015
	ds_read_b32 v168, v21 offset:13056                         // 000000015714: D86C3300 A8000015
	ds_read_b32 v169, v21 offset:13120                         // 00000001571C: D86C3340 A9000015
	ds_read_b32 v172, v21 offset:15232                         // 000000015724: D86C3B80 AC000015
	ds_read_b32 v173, v21 offset:15296                         // 00000001572C: D86C3BC0 AD000015
	ds_read_b32 v176, v21 offset:17408                         // 000000015734: D86C4400 B0000015
	ds_read_b32 v177, v21 offset:17472                         // 00000001573C: D86C4440 B1000015
	ds_read_b32 v180, v21 offset:19584                         // 000000015744: D86C4C80 B4000015
	ds_read_b32 v181, v21 offset:19648                         // 00000001574C: D86C4CC0 B5000015
	ds_read_b32 v184, v21 offset:21760                         // 000000015754: D86C5500 B8000015
	ds_read_b32 v185, v21 offset:21824                         // 00000001575C: D86C5540 B9000015
	ds_read_b32 v188, v21 offset:23936                         // 000000015764: D86C5D80 BC000015
	ds_read_b32 v189, v21 offset:24000                         // 00000001576C: D86C5DC0 BD000015
	ds_read_b32 v192, v21 offset:26112                         // 000000015774: D86C6600 C0000015
	ds_read_b32 v193, v21 offset:26176                         // 00000001577C: D86C6640 C1000015
	ds_read_b32 v196, v21 offset:28288                         // 000000015784: D86C6E80 C4000015
	ds_read_b32 v197, v21 offset:28352                         // 00000001578C: D86C6EC0 C5000015
	ds_read_b32 v200, v21 offset:30464                         // 000000015794: D86C7700 C8000015
	ds_read_b32 v201, v21 offset:30528                         // 00000001579C: D86C7740 C9000015
	ds_read_b32 v204, v21 offset:32640                         // 0000000157A4: D86C7F80 CC000015
	ds_read_b32 v205, v21 offset:32704                         // 0000000157AC: D86C7FC0 CD000015
	ds_read_b32 v208, v21 offset:34816                         // 0000000157B4: D86C8800 D0000015
	ds_read_b32 v209, v21 offset:34880                         // 0000000157BC: D86C8840 D1000015
	ds_read_b32 v212, v21 offset:36992                         // 0000000157C4: D86C9080 D4000015
	ds_read_b32 v213, v21 offset:37056                         // 0000000157CC: D86C90C0 D5000015
	ds_read_b32 v216, v21 offset:39168                         // 0000000157D4: D86C9900 D8000015
	ds_read_b32 v217, v21 offset:39232                         // 0000000157DC: D86C9940 D9000015
	ds_read_b32 v220, v21 offset:41344                         // 0000000157E4: D86CA180 DC000015
	ds_read_b32 v221, v21 offset:41408                         // 0000000157EC: D86CA1C0 DD000015
	s_mul_i32 s60, s65, 4                                      // 0000000157F4: 923C8441
	s_add_u32 s8, s60, s8                                      // 0000000157F8: 8008083C
	s_addc_u32 s9, 0, s9                                       // 0000000157FC: 82090980
	s_waitcnt lgkmcnt(0)                                       // 000000015800: BF8CC07F
	v_mov_b32_e32 v7, 0                                        // 000000015804: 7E0E0280
	s_mov_b64 exec, s[36:37]                                   // 000000015808: BEFE0124
	v_mov_b32_e32 v6, v50                                      // 00000001580C: 7E0C0332
	s_mov_b64 s[60:61], 0                                      // 000000015810: BEBC0180
	v_readlane_b32 s82, v3, 0                                  // 000000015814: D2890052 00010103
	s_and_b32 s82, s82, 0xffffff                               // 00000001581C: 8652FF52 00FFFFFF
	s_cmp_lt_u32 s82, s66                                      // 000000015824: BF0A4252
	s_cselect_b32 s20, s36, s60                                // 000000015828: 85143C24
	v_readlane_b32 s82, v3, 1                                  // 00000001582C: D2890052 00010303
	s_and_b32 s82, s82, 0xffffff                               // 000000015834: 8652FF52 00FFFFFF
	s_cmp_lt_u32 s82, s66                                      // 00000001583C: BF0A4252
	s_cselect_b32 s21, s36, s60                                // 000000015840: 85153C24
	s_mov_b64 exec, s[20:21]                                   // 000000015844: BEFE0114
	global_atomic_add_f32 v6, v144, s[8:9]                     // 000000015848: DD348000 00089006
	global_atomic_add_f32 v6, v148, s[8:9] offset:256          // 000000015850: DD348100 00089406
	global_atomic_add_f32 v6, v152, s[8:9] offset:512          // 000000015858: DD348200 00089806
	global_atomic_add_f32 v6, v156, s[8:9] offset:768          // 000000015860: DD348300 00089C06
	s_mov_b64 exec, s[36:37]                                   // 000000015868: BEFE0124
	v_mov_b32_e32 v6, v51                                      // 00000001586C: 7E0C0333
	s_mov_b64 s[60:61], 0                                      // 000000015870: BEBC0180
	v_readlane_b32 s82, v3, 2                                  // 000000015874: D2890052 00010503
	s_and_b32 s82, s82, 0xffffff                               // 00000001587C: 8652FF52 00FFFFFF
	s_cmp_lt_u32 s82, s66                                      // 000000015884: BF0A4252
	s_cselect_b32 s20, s36, s60                                // 000000015888: 85143C24
	v_readlane_b32 s82, v3, 3                                  // 00000001588C: D2890052 00010703
	s_and_b32 s82, s82, 0xffffff                               // 000000015894: 8652FF52 00FFFFFF
	s_cmp_lt_u32 s82, s66                                      // 00000001589C: BF0A4252
	s_cselect_b32 s21, s36, s60                                // 0000000158A0: 85153C24
	s_mov_b64 exec, s[20:21]                                   // 0000000158A4: BEFE0114
	global_atomic_add_f32 v6, v145, s[8:9]                     // 0000000158A8: DD348000 00089106
	global_atomic_add_f32 v6, v149, s[8:9] offset:256          // 0000000158B0: DD348100 00089506
	global_atomic_add_f32 v6, v153, s[8:9] offset:512          // 0000000158B8: DD348200 00089906
	global_atomic_add_f32 v6, v157, s[8:9] offset:768          // 0000000158C0: DD348300 00089D06
	s_mov_b64 exec, s[36:37]                                   // 0000000158C8: BEFE0124
	v_mov_b32_e32 v6, v52                                      // 0000000158CC: 7E0C0334
	s_mov_b64 s[60:61], 0                                      // 0000000158D0: BEBC0180
	v_readlane_b32 s82, v3, 4                                  // 0000000158D4: D2890052 00010903
	s_and_b32 s82, s82, 0xffffff                               // 0000000158DC: 8652FF52 00FFFFFF
	s_cmp_lt_u32 s82, s66                                      // 0000000158E4: BF0A4252
	s_cselect_b32 s20, s36, s60                                // 0000000158E8: 85143C24
	v_readlane_b32 s82, v3, 5                                  // 0000000158EC: D2890052 00010B03
	s_and_b32 s82, s82, 0xffffff                               // 0000000158F4: 8652FF52 00FFFFFF
	s_cmp_lt_u32 s82, s66                                      // 0000000158FC: BF0A4252
	s_cselect_b32 s21, s36, s60                                // 000000015900: 85153C24
	s_mov_b64 exec, s[20:21]                                   // 000000015904: BEFE0114
	global_atomic_add_f32 v6, v160, s[8:9]                     // 000000015908: DD348000 0008A006
	global_atomic_add_f32 v6, v164, s[8:9] offset:256          // 000000015910: DD348100 0008A406
	global_atomic_add_f32 v6, v168, s[8:9] offset:512          // 000000015918: DD348200 0008A806
	global_atomic_add_f32 v6, v172, s[8:9] offset:768          // 000000015920: DD348300 0008AC06
	s_mov_b64 exec, s[36:37]                                   // 000000015928: BEFE0124
	v_mov_b32_e32 v6, v53                                      // 00000001592C: 7E0C0335
	s_mov_b64 s[60:61], 0                                      // 000000015930: BEBC0180
	v_readlane_b32 s82, v3, 6                                  // 000000015934: D2890052 00010D03
	s_and_b32 s82, s82, 0xffffff                               // 00000001593C: 8652FF52 00FFFFFF
	s_cmp_lt_u32 s82, s66                                      // 000000015944: BF0A4252
	s_cselect_b32 s20, s36, s60                                // 000000015948: 85143C24
	v_readlane_b32 s82, v3, 7                                  // 00000001594C: D2890052 00010F03
	s_and_b32 s82, s82, 0xffffff                               // 000000015954: 8652FF52 00FFFFFF
	s_cmp_lt_u32 s82, s66                                      // 00000001595C: BF0A4252
	s_cselect_b32 s21, s36, s60                                // 000000015960: 85153C24
	s_mov_b64 exec, s[20:21]                                   // 000000015964: BEFE0114
	global_atomic_add_f32 v6, v161, s[8:9]                     // 000000015968: DD348000 0008A106
	global_atomic_add_f32 v6, v165, s[8:9] offset:256          // 000000015970: DD348100 0008A506
	global_atomic_add_f32 v6, v169, s[8:9] offset:512          // 000000015978: DD348200 0008A906
	global_atomic_add_f32 v6, v173, s[8:9] offset:768          // 000000015980: DD348300 0008AD06
	s_mov_b64 exec, s[36:37]                                   // 000000015988: BEFE0124
	v_mov_b32_e32 v6, v54                                      // 00000001598C: 7E0C0336
	s_mov_b64 s[60:61], 0                                      // 000000015990: BEBC0180
	v_readlane_b32 s82, v3, 8                                  // 000000015994: D2890052 00011103
	s_and_b32 s82, s82, 0xffffff                               // 00000001599C: 8652FF52 00FFFFFF
	s_cmp_lt_u32 s82, s66                                      // 0000000159A4: BF0A4252
	s_cselect_b32 s20, s36, s60                                // 0000000159A8: 85143C24
	v_readlane_b32 s82, v3, 9                                  // 0000000159AC: D2890052 00011303
	s_and_b32 s82, s82, 0xffffff                               // 0000000159B4: 8652FF52 00FFFFFF
	s_cmp_lt_u32 s82, s66                                      // 0000000159BC: BF0A4252
	s_cselect_b32 s21, s36, s60                                // 0000000159C0: 85153C24
	s_mov_b64 exec, s[20:21]                                   // 0000000159C4: BEFE0114
	global_atomic_add_f32 v6, v176, s[8:9]                     // 0000000159C8: DD348000 0008B006
	global_atomic_add_f32 v6, v180, s[8:9] offset:256          // 0000000159D0: DD348100 0008B406
	global_atomic_add_f32 v6, v184, s[8:9] offset:512          // 0000000159D8: DD348200 0008B806
	global_atomic_add_f32 v6, v188, s[8:9] offset:768          // 0000000159E0: DD348300 0008BC06
	s_mov_b64 exec, s[36:37]                                   // 0000000159E8: BEFE0124
	v_mov_b32_e32 v6, v55                                      // 0000000159EC: 7E0C0337
	s_mov_b64 s[60:61], 0                                      // 0000000159F0: BEBC0180
	v_readlane_b32 s82, v3, 10                                 // 0000000159F4: D2890052 00011503
	s_and_b32 s82, s82, 0xffffff                               // 0000000159FC: 8652FF52 00FFFFFF
	s_cmp_lt_u32 s82, s66                                      // 000000015A04: BF0A4252
	s_cselect_b32 s20, s36, s60                                // 000000015A08: 85143C24
	v_readlane_b32 s82, v3, 11                                 // 000000015A0C: D2890052 00011703
	s_and_b32 s82, s82, 0xffffff                               // 000000015A14: 8652FF52 00FFFFFF
	s_cmp_lt_u32 s82, s66                                      // 000000015A1C: BF0A4252
	s_cselect_b32 s21, s36, s60                                // 000000015A20: 85153C24
	s_mov_b64 exec, s[20:21]                                   // 000000015A24: BEFE0114
	global_atomic_add_f32 v6, v177, s[8:9]                     // 000000015A28: DD348000 0008B106
	global_atomic_add_f32 v6, v181, s[8:9] offset:256          // 000000015A30: DD348100 0008B506
	global_atomic_add_f32 v6, v185, s[8:9] offset:512          // 000000015A38: DD348200 0008B906
	global_atomic_add_f32 v6, v189, s[8:9] offset:768          // 000000015A40: DD348300 0008BD06
	s_mov_b64 exec, s[36:37]                                   // 000000015A48: BEFE0124
	v_mov_b32_e32 v6, v56                                      // 000000015A4C: 7E0C0338
	s_mov_b64 s[60:61], 0                                      // 000000015A50: BEBC0180
	v_readlane_b32 s82, v3, 12                                 // 000000015A54: D2890052 00011903
	s_and_b32 s82, s82, 0xffffff                               // 000000015A5C: 8652FF52 00FFFFFF
	s_cmp_lt_u32 s82, s66                                      // 000000015A64: BF0A4252
	s_cselect_b32 s20, s36, s60                                // 000000015A68: 85143C24
	v_readlane_b32 s82, v3, 13                                 // 000000015A6C: D2890052 00011B03
	s_and_b32 s82, s82, 0xffffff                               // 000000015A74: 8652FF52 00FFFFFF
	s_cmp_lt_u32 s82, s66                                      // 000000015A7C: BF0A4252
	s_cselect_b32 s21, s36, s60                                // 000000015A80: 85153C24
	s_mov_b64 exec, s[20:21]                                   // 000000015A84: BEFE0114
	global_atomic_add_f32 v6, v192, s[8:9]                     // 000000015A88: DD348000 0008C006
	global_atomic_add_f32 v6, v196, s[8:9] offset:256          // 000000015A90: DD348100 0008C406
	global_atomic_add_f32 v6, v200, s[8:9] offset:512          // 000000015A98: DD348200 0008C806
	global_atomic_add_f32 v6, v204, s[8:9] offset:768          // 000000015AA0: DD348300 0008CC06
	s_mov_b64 exec, s[36:37]                                   // 000000015AA8: BEFE0124
	v_mov_b32_e32 v6, v57                                      // 000000015AAC: 7E0C0339
	s_mov_b64 s[60:61], 0                                      // 000000015AB0: BEBC0180
	v_readlane_b32 s82, v3, 14                                 // 000000015AB4: D2890052 00011D03
	s_and_b32 s82, s82, 0xffffff                               // 000000015ABC: 8652FF52 00FFFFFF
	s_cmp_lt_u32 s82, s66                                      // 000000015AC4: BF0A4252
	s_cselect_b32 s20, s36, s60                                // 000000015AC8: 85143C24
	v_readlane_b32 s82, v3, 15                                 // 000000015ACC: D2890052 00011F03
	s_and_b32 s82, s82, 0xffffff                               // 000000015AD4: 8652FF52 00FFFFFF
	s_cmp_lt_u32 s82, s66                                      // 000000015ADC: BF0A4252
	s_cselect_b32 s21, s36, s60                                // 000000015AE0: 85153C24
	s_mov_b64 exec, s[20:21]                                   // 000000015AE4: BEFE0114
	global_atomic_add_f32 v6, v193, s[8:9]                     // 000000015AE8: DD348000 0008C106
	global_atomic_add_f32 v6, v197, s[8:9] offset:256          // 000000015AF0: DD348100 0008C506
	global_atomic_add_f32 v6, v201, s[8:9] offset:512          // 000000015AF8: DD348200 0008C906
	global_atomic_add_f32 v6, v205, s[8:9] offset:768          // 000000015B00: DD348300 0008CD06
	s_mov_b64 exec, s[36:37]                                   // 000000015B08: BEFE0124
	v_mov_b32_e32 v6, v58                                      // 000000015B0C: 7E0C033A
	s_mov_b64 s[60:61], 0                                      // 000000015B10: BEBC0180
	v_readlane_b32 s82, v3, 16                                 // 000000015B14: D2890052 00012103
	s_and_b32 s82, s82, 0xffffff                               // 000000015B1C: 8652FF52 00FFFFFF
	s_cmp_lt_u32 s82, s66                                      // 000000015B24: BF0A4252
	s_cselect_b32 s20, s36, s60                                // 000000015B28: 85143C24
	v_readlane_b32 s82, v3, 17                                 // 000000015B2C: D2890052 00012303
	s_and_b32 s82, s82, 0xffffff                               // 000000015B34: 8652FF52 00FFFFFF
	s_cmp_lt_u32 s82, s66                                      // 000000015B3C: BF0A4252
	s_cselect_b32 s21, s36, s60                                // 000000015B40: 85153C24
	s_mov_b64 exec, s[20:21]                                   // 000000015B44: BEFE0114
	global_atomic_add_f32 v6, v208, s[8:9]                     // 000000015B48: DD348000 0008D006
	global_atomic_add_f32 v6, v212, s[8:9] offset:256          // 000000015B50: DD348100 0008D406
	global_atomic_add_f32 v6, v216, s[8:9] offset:512          // 000000015B58: DD348200 0008D806
	global_atomic_add_f32 v6, v220, s[8:9] offset:768          // 000000015B60: DD348300 0008DC06
	s_mov_b64 exec, s[36:37]                                   // 000000015B68: BEFE0124
	v_mov_b32_e32 v6, v59                                      // 000000015B6C: 7E0C033B
	s_mov_b64 s[60:61], 0                                      // 000000015B70: BEBC0180
	v_readlane_b32 s82, v3, 18                                 // 000000015B74: D2890052 00012503
	s_and_b32 s82, s82, 0xffffff                               // 000000015B7C: 8652FF52 00FFFFFF
	s_cmp_lt_u32 s82, s66                                      // 000000015B84: BF0A4252
	s_cselect_b32 s20, s36, s60                                // 000000015B88: 85143C24
	v_readlane_b32 s82, v3, 19                                 // 000000015B8C: D2890052 00012703
	s_and_b32 s82, s82, 0xffffff                               // 000000015B94: 8652FF52 00FFFFFF
	s_cmp_lt_u32 s82, s66                                      // 000000015B9C: BF0A4252
	s_cselect_b32 s21, s36, s60                                // 000000015BA0: 85153C24
	s_mov_b64 exec, s[20:21]                                   // 000000015BA4: BEFE0114
	global_atomic_add_f32 v6, v209, s[8:9]                     // 000000015BA8: DD348000 0008D106
	global_atomic_add_f32 v6, v213, s[8:9] offset:256          // 000000015BB0: DD348100 0008D506
	global_atomic_add_f32 v6, v217, s[8:9] offset:512          // 000000015BB8: DD348200 0008D906
	global_atomic_add_f32 v6, v221, s[8:9] offset:768          // 000000015BC0: DD348300 0008DD06
	s_mov_b64 exec, s[36:37]                                   // 000000015BC8: BEFE0124
	ds_write_b64 v20, v[146:147]                               // 000000015BCC: D89A0000 00009214
	ds_write_b64 v20, v[150:151] offset:8704                   // 000000015BD4: D89A2200 00009614
	ds_write_b64 v20, v[154:155] offset:17408                  // 000000015BDC: D89A4400 00009A14
	ds_write_b64 v20, v[158:159] offset:26112                  // 000000015BE4: D89A6600 00009E14
	ds_write_b64 v20, v[162:163] offset:34816                  // 000000015BEC: D89A8800 0000A214
	ds_write_b64 v20, v[166:167] offset:2176                   // 000000015BF4: D89A0880 0000A614
	ds_write_b64 v20, v[170:171] offset:10880                  // 000000015BFC: D89A2A80 0000AA14
	ds_write_b64 v20, v[174:175] offset:19584                  // 000000015C04: D89A4C80 0000AE14
	ds_write_b64 v20, v[178:179] offset:28288                  // 000000015C0C: D89A6E80 0000B214
	ds_write_b64 v20, v[182:183] offset:36992                  // 000000015C14: D89A9080 0000B614
	ds_write_b64 v20, v[186:187] offset:4352                   // 000000015C1C: D89A1100 0000BA14
	ds_write_b64 v20, v[190:191] offset:13056                  // 000000015C24: D89A3300 0000BE14
	ds_write_b64 v20, v[194:195] offset:21760                  // 000000015C2C: D89A5500 0000C214
	ds_write_b64 v20, v[198:199] offset:30464                  // 000000015C34: D89A7700 0000C614
	ds_write_b64 v20, v[202:203] offset:39168                  // 000000015C3C: D89A9900 0000CA14
	ds_write_b64 v20, v[206:207] offset:6528                   // 000000015C44: D89A1980 0000CE14
	ds_write_b64 v20, v[210:211] offset:15232                  // 000000015C4C: D89A3B80 0000D214
	ds_write_b64 v20, v[214:215] offset:23936                  // 000000015C54: D89A5D80 0000D614
	ds_write_b64 v20, v[218:219] offset:32640                  // 000000015C5C: D89A7F80 0000DA14
	ds_write_b64 v20, v[222:223] offset:41344                  // 000000015C64: D89AA180 0000DE14
	s_waitcnt lgkmcnt(0)                                       // 000000015C6C: BF8CC07F
	s_barrier                                                  // 000000015C70: BF8A0000
	ds_read_b32 v146, v21                                      // 000000015C74: D86C0000 92000015
	ds_read_b32 v147, v21 offset:64                            // 000000015C7C: D86C0040 93000015
	ds_read_b32 v150, v21 offset:2176                          // 000000015C84: D86C0880 96000015
	ds_read_b32 v151, v21 offset:2240                          // 000000015C8C: D86C08C0 97000015
	ds_read_b32 v154, v21 offset:4352                          // 000000015C94: D86C1100 9A000015
	ds_read_b32 v155, v21 offset:4416                          // 000000015C9C: D86C1140 9B000015
	ds_read_b32 v158, v21 offset:6528                          // 000000015CA4: D86C1980 9E000015
	ds_read_b32 v159, v21 offset:6592                          // 000000015CAC: D86C19C0 9F000015
	ds_read_b32 v162, v21 offset:8704                          // 000000015CB4: D86C2200 A2000015
	ds_read_b32 v163, v21 offset:8768                          // 000000015CBC: D86C2240 A3000015
	ds_read_b32 v166, v21 offset:10880                         // 000000015CC4: D86C2A80 A6000015
	ds_read_b32 v167, v21 offset:10944                         // 000000015CCC: D86C2AC0 A7000015
	ds_read_b32 v170, v21 offset:13056                         // 000000015CD4: D86C3300 AA000015
	ds_read_b32 v171, v21 offset:13120                         // 000000015CDC: D86C3340 AB000015
	ds_read_b32 v174, v21 offset:15232                         // 000000015CE4: D86C3B80 AE000015
	ds_read_b32 v175, v21 offset:15296                         // 000000015CEC: D86C3BC0 AF000015
	ds_read_b32 v178, v21 offset:17408                         // 000000015CF4: D86C4400 B2000015
	ds_read_b32 v179, v21 offset:17472                         // 000000015CFC: D86C4440 B3000015
	ds_read_b32 v182, v21 offset:19584                         // 000000015D04: D86C4C80 B6000015
	ds_read_b32 v183, v21 offset:19648                         // 000000015D0C: D86C4CC0 B7000015
	ds_read_b32 v186, v21 offset:21760                         // 000000015D14: D86C5500 BA000015
	ds_read_b32 v187, v21 offset:21824                         // 000000015D1C: D86C5540 BB000015
	ds_read_b32 v190, v21 offset:23936                         // 000000015D24: D86C5D80 BE000015
	ds_read_b32 v191, v21 offset:24000                         // 000000015D2C: D86C5DC0 BF000015
	ds_read_b32 v194, v21 offset:26112                         // 000000015D34: D86C6600 C2000015
	ds_read_b32 v195, v21 offset:26176                         // 000000015D3C: D86C6640 C3000015
	ds_read_b32 v198, v21 offset:28288                         // 000000015D44: D86C6E80 C6000015
	ds_read_b32 v199, v21 offset:28352                         // 000000015D4C: D86C6EC0 C7000015
	ds_read_b32 v202, v21 offset:30464                         // 000000015D54: D86C7700 CA000015
	ds_read_b32 v203, v21 offset:30528                         // 000000015D5C: D86C7740 CB000015
	ds_read_b32 v206, v21 offset:32640                         // 000000015D64: D86C7F80 CE000015
	ds_read_b32 v207, v21 offset:32704                         // 000000015D6C: D86C7FC0 CF000015
	ds_read_b32 v210, v21 offset:34816                         // 000000015D74: D86C8800 D2000015
	ds_read_b32 v211, v21 offset:34880                         // 000000015D7C: D86C8840 D3000015
	ds_read_b32 v214, v21 offset:36992                         // 000000015D84: D86C9080 D6000015
	ds_read_b32 v215, v21 offset:37056                         // 000000015D8C: D86C90C0 D7000015
	ds_read_b32 v218, v21 offset:39168                         // 000000015D94: D86C9900 DA000015
	ds_read_b32 v219, v21 offset:39232                         // 000000015D9C: D86C9940 DB000015
	ds_read_b32 v222, v21 offset:41344                         // 000000015DA4: D86CA180 DE000015
	ds_read_b32 v223, v21 offset:41408                         // 000000015DAC: D86CA1C0 DF000015
	s_waitcnt lgkmcnt(0)                                       // 000000015DB4: BF8CC07F
	v_mov_b32_e32 v7, 0                                        // 000000015DB8: 7E0E0280
	s_mov_b64 exec, s[36:37]                                   // 000000015DBC: BEFE0124
	v_mov_b32_e32 v6, v50                                      // 000000015DC0: 7E0C0332
	s_mov_b64 s[60:61], 0                                      // 000000015DC4: BEBC0180
	v_readlane_b32 s82, v3, 0                                  // 000000015DC8: D2890052 00010103
	s_and_b32 s82, s82, 0xffffff                               // 000000015DD0: 8652FF52 00FFFFFF
	s_cmp_lt_u32 s82, s66                                      // 000000015DD8: BF0A4252
	s_cselect_b32 s20, s36, s60                                // 000000015DDC: 85143C24
	v_readlane_b32 s82, v3, 1                                  // 000000015DE0: D2890052 00010303
	s_and_b32 s82, s82, 0xffffff                               // 000000015DE8: 8652FF52 00FFFFFF
	s_cmp_lt_u32 s82, s66                                      // 000000015DF0: BF0A4252
	s_cselect_b32 s21, s36, s60                                // 000000015DF4: 85153C24
	s_mov_b64 exec, s[20:21]                                   // 000000015DF8: BEFE0114
	global_atomic_add_f32 v6, v146, s[8:9] offset:8            // 000000015DFC: DD348008 00089206
	global_atomic_add_f32 v6, v150, s[8:9] offset:264          // 000000015E04: DD348108 00089606
	global_atomic_add_f32 v6, v154, s[8:9] offset:520          // 000000015E0C: DD348208 00089A06
	global_atomic_add_f32 v6, v158, s[8:9] offset:776          // 000000015E14: DD348308 00089E06
	s_mov_b64 exec, s[36:37]                                   // 000000015E1C: BEFE0124
	v_mov_b32_e32 v6, v51                                      // 000000015E20: 7E0C0333
	s_mov_b64 s[60:61], 0                                      // 000000015E24: BEBC0180
	v_readlane_b32 s82, v3, 2                                  // 000000015E28: D2890052 00010503
	s_and_b32 s82, s82, 0xffffff                               // 000000015E30: 8652FF52 00FFFFFF
	s_cmp_lt_u32 s82, s66                                      // 000000015E38: BF0A4252
	s_cselect_b32 s20, s36, s60                                // 000000015E3C: 85143C24
	v_readlane_b32 s82, v3, 3                                  // 000000015E40: D2890052 00010703
	s_and_b32 s82, s82, 0xffffff                               // 000000015E48: 8652FF52 00FFFFFF
	s_cmp_lt_u32 s82, s66                                      // 000000015E50: BF0A4252
	s_cselect_b32 s21, s36, s60                                // 000000015E54: 85153C24
	s_mov_b64 exec, s[20:21]                                   // 000000015E58: BEFE0114
	global_atomic_add_f32 v6, v147, s[8:9] offset:8            // 000000015E5C: DD348008 00089306
	global_atomic_add_f32 v6, v151, s[8:9] offset:264          // 000000015E64: DD348108 00089706
	global_atomic_add_f32 v6, v155, s[8:9] offset:520          // 000000015E6C: DD348208 00089B06
	global_atomic_add_f32 v6, v159, s[8:9] offset:776          // 000000015E74: DD348308 00089F06
	s_mov_b64 exec, s[36:37]                                   // 000000015E7C: BEFE0124
	v_mov_b32_e32 v6, v52                                      // 000000015E80: 7E0C0334
	s_mov_b64 s[60:61], 0                                      // 000000015E84: BEBC0180
	v_readlane_b32 s82, v3, 4                                  // 000000015E88: D2890052 00010903
	s_and_b32 s82, s82, 0xffffff                               // 000000015E90: 8652FF52 00FFFFFF
	s_cmp_lt_u32 s82, s66                                      // 000000015E98: BF0A4252
	s_cselect_b32 s20, s36, s60                                // 000000015E9C: 85143C24
	v_readlane_b32 s82, v3, 5                                  // 000000015EA0: D2890052 00010B03
	s_and_b32 s82, s82, 0xffffff                               // 000000015EA8: 8652FF52 00FFFFFF
	s_cmp_lt_u32 s82, s66                                      // 000000015EB0: BF0A4252
	s_cselect_b32 s21, s36, s60                                // 000000015EB4: 85153C24
	s_mov_b64 exec, s[20:21]                                   // 000000015EB8: BEFE0114
	global_atomic_add_f32 v6, v162, s[8:9] offset:8            // 000000015EBC: DD348008 0008A206
	global_atomic_add_f32 v6, v166, s[8:9] offset:264          // 000000015EC4: DD348108 0008A606
	global_atomic_add_f32 v6, v170, s[8:9] offset:520          // 000000015ECC: DD348208 0008AA06
	global_atomic_add_f32 v6, v174, s[8:9] offset:776          // 000000015ED4: DD348308 0008AE06
	s_mov_b64 exec, s[36:37]                                   // 000000015EDC: BEFE0124
	v_mov_b32_e32 v6, v53                                      // 000000015EE0: 7E0C0335
	s_mov_b64 s[60:61], 0                                      // 000000015EE4: BEBC0180
	v_readlane_b32 s82, v3, 6                                  // 000000015EE8: D2890052 00010D03
	s_and_b32 s82, s82, 0xffffff                               // 000000015EF0: 8652FF52 00FFFFFF
	s_cmp_lt_u32 s82, s66                                      // 000000015EF8: BF0A4252
	s_cselect_b32 s20, s36, s60                                // 000000015EFC: 85143C24
	v_readlane_b32 s82, v3, 7                                  // 000000015F00: D2890052 00010F03
	s_and_b32 s82, s82, 0xffffff                               // 000000015F08: 8652FF52 00FFFFFF
	s_cmp_lt_u32 s82, s66                                      // 000000015F10: BF0A4252
	s_cselect_b32 s21, s36, s60                                // 000000015F14: 85153C24
	s_mov_b64 exec, s[20:21]                                   // 000000015F18: BEFE0114
	global_atomic_add_f32 v6, v163, s[8:9] offset:8            // 000000015F1C: DD348008 0008A306
	global_atomic_add_f32 v6, v167, s[8:9] offset:264          // 000000015F24: DD348108 0008A706
	global_atomic_add_f32 v6, v171, s[8:9] offset:520          // 000000015F2C: DD348208 0008AB06
	global_atomic_add_f32 v6, v175, s[8:9] offset:776          // 000000015F34: DD348308 0008AF06
	s_mov_b64 exec, s[36:37]                                   // 000000015F3C: BEFE0124
	v_mov_b32_e32 v6, v54                                      // 000000015F40: 7E0C0336
	s_mov_b64 s[60:61], 0                                      // 000000015F44: BEBC0180
	v_readlane_b32 s82, v3, 8                                  // 000000015F48: D2890052 00011103
	s_and_b32 s82, s82, 0xffffff                               // 000000015F50: 8652FF52 00FFFFFF
	s_cmp_lt_u32 s82, s66                                      // 000000015F58: BF0A4252
	s_cselect_b32 s20, s36, s60                                // 000000015F5C: 85143C24
	v_readlane_b32 s82, v3, 9                                  // 000000015F60: D2890052 00011303
	s_and_b32 s82, s82, 0xffffff                               // 000000015F68: 8652FF52 00FFFFFF
	s_cmp_lt_u32 s82, s66                                      // 000000015F70: BF0A4252
	s_cselect_b32 s21, s36, s60                                // 000000015F74: 85153C24
	s_mov_b64 exec, s[20:21]                                   // 000000015F78: BEFE0114
	global_atomic_add_f32 v6, v178, s[8:9] offset:8            // 000000015F7C: DD348008 0008B206
	global_atomic_add_f32 v6, v182, s[8:9] offset:264          // 000000015F84: DD348108 0008B606
	global_atomic_add_f32 v6, v186, s[8:9] offset:520          // 000000015F8C: DD348208 0008BA06
	global_atomic_add_f32 v6, v190, s[8:9] offset:776          // 000000015F94: DD348308 0008BE06
	s_mov_b64 exec, s[36:37]                                   // 000000015F9C: BEFE0124
	v_mov_b32_e32 v6, v55                                      // 000000015FA0: 7E0C0337
	s_mov_b64 s[60:61], 0                                      // 000000015FA4: BEBC0180
	v_readlane_b32 s82, v3, 10                                 // 000000015FA8: D2890052 00011503
	s_and_b32 s82, s82, 0xffffff                               // 000000015FB0: 8652FF52 00FFFFFF
	s_cmp_lt_u32 s82, s66                                      // 000000015FB8: BF0A4252
	s_cselect_b32 s20, s36, s60                                // 000000015FBC: 85143C24
	v_readlane_b32 s82, v3, 11                                 // 000000015FC0: D2890052 00011703
	s_and_b32 s82, s82, 0xffffff                               // 000000015FC8: 8652FF52 00FFFFFF
	s_cmp_lt_u32 s82, s66                                      // 000000015FD0: BF0A4252
	s_cselect_b32 s21, s36, s60                                // 000000015FD4: 85153C24
	s_mov_b64 exec, s[20:21]                                   // 000000015FD8: BEFE0114
	global_atomic_add_f32 v6, v179, s[8:9] offset:8            // 000000015FDC: DD348008 0008B306
	global_atomic_add_f32 v6, v183, s[8:9] offset:264          // 000000015FE4: DD348108 0008B706
	global_atomic_add_f32 v6, v187, s[8:9] offset:520          // 000000015FEC: DD348208 0008BB06
	global_atomic_add_f32 v6, v191, s[8:9] offset:776          // 000000015FF4: DD348308 0008BF06
	s_mov_b64 exec, s[36:37]                                   // 000000015FFC: BEFE0124
	v_mov_b32_e32 v6, v56                                      // 000000016000: 7E0C0338
	s_mov_b64 s[60:61], 0                                      // 000000016004: BEBC0180
	v_readlane_b32 s82, v3, 12                                 // 000000016008: D2890052 00011903
	s_and_b32 s82, s82, 0xffffff                               // 000000016010: 8652FF52 00FFFFFF
	s_cmp_lt_u32 s82, s66                                      // 000000016018: BF0A4252
	s_cselect_b32 s20, s36, s60                                // 00000001601C: 85143C24
	v_readlane_b32 s82, v3, 13                                 // 000000016020: D2890052 00011B03
	s_and_b32 s82, s82, 0xffffff                               // 000000016028: 8652FF52 00FFFFFF
	s_cmp_lt_u32 s82, s66                                      // 000000016030: BF0A4252
	s_cselect_b32 s21, s36, s60                                // 000000016034: 85153C24
	s_mov_b64 exec, s[20:21]                                   // 000000016038: BEFE0114
	global_atomic_add_f32 v6, v194, s[8:9] offset:8            // 00000001603C: DD348008 0008C206
	global_atomic_add_f32 v6, v198, s[8:9] offset:264          // 000000016044: DD348108 0008C606
	global_atomic_add_f32 v6, v202, s[8:9] offset:520          // 00000001604C: DD348208 0008CA06
	global_atomic_add_f32 v6, v206, s[8:9] offset:776          // 000000016054: DD348308 0008CE06
	s_mov_b64 exec, s[36:37]                                   // 00000001605C: BEFE0124
	v_mov_b32_e32 v6, v57                                      // 000000016060: 7E0C0339
	s_mov_b64 s[60:61], 0                                      // 000000016064: BEBC0180
	v_readlane_b32 s82, v3, 14                                 // 000000016068: D2890052 00011D03
	s_and_b32 s82, s82, 0xffffff                               // 000000016070: 8652FF52 00FFFFFF
	s_cmp_lt_u32 s82, s66                                      // 000000016078: BF0A4252
	s_cselect_b32 s20, s36, s60                                // 00000001607C: 85143C24
	v_readlane_b32 s82, v3, 15                                 // 000000016080: D2890052 00011F03
	s_and_b32 s82, s82, 0xffffff                               // 000000016088: 8652FF52 00FFFFFF
	s_cmp_lt_u32 s82, s66                                      // 000000016090: BF0A4252
	s_cselect_b32 s21, s36, s60                                // 000000016094: 85153C24
	s_mov_b64 exec, s[20:21]                                   // 000000016098: BEFE0114
	global_atomic_add_f32 v6, v195, s[8:9] offset:8            // 00000001609C: DD348008 0008C306
	global_atomic_add_f32 v6, v199, s[8:9] offset:264          // 0000000160A4: DD348108 0008C706
	global_atomic_add_f32 v6, v203, s[8:9] offset:520          // 0000000160AC: DD348208 0008CB06
	global_atomic_add_f32 v6, v207, s[8:9] offset:776          // 0000000160B4: DD348308 0008CF06
	s_mov_b64 exec, s[36:37]                                   // 0000000160BC: BEFE0124
	v_mov_b32_e32 v6, v58                                      // 0000000160C0: 7E0C033A
	s_mov_b64 s[60:61], 0                                      // 0000000160C4: BEBC0180
	v_readlane_b32 s82, v3, 16                                 // 0000000160C8: D2890052 00012103
	s_and_b32 s82, s82, 0xffffff                               // 0000000160D0: 8652FF52 00FFFFFF
	s_cmp_lt_u32 s82, s66                                      // 0000000160D8: BF0A4252
	s_cselect_b32 s20, s36, s60                                // 0000000160DC: 85143C24
	v_readlane_b32 s82, v3, 17                                 // 0000000160E0: D2890052 00012303
	s_and_b32 s82, s82, 0xffffff                               // 0000000160E8: 8652FF52 00FFFFFF
	s_cmp_lt_u32 s82, s66                                      // 0000000160F0: BF0A4252
	s_cselect_b32 s21, s36, s60                                // 0000000160F4: 85153C24
	s_mov_b64 exec, s[20:21]                                   // 0000000160F8: BEFE0114
	global_atomic_add_f32 v6, v210, s[8:9] offset:8            // 0000000160FC: DD348008 0008D206
	global_atomic_add_f32 v6, v214, s[8:9] offset:264          // 000000016104: DD348108 0008D606
	global_atomic_add_f32 v6, v218, s[8:9] offset:520          // 00000001610C: DD348208 0008DA06
	global_atomic_add_f32 v6, v222, s[8:9] offset:776          // 000000016114: DD348308 0008DE06
	s_mov_b64 exec, s[36:37]                                   // 00000001611C: BEFE0124
	v_mov_b32_e32 v6, v59                                      // 000000016120: 7E0C033B
	s_mov_b64 s[60:61], 0                                      // 000000016124: BEBC0180
	v_readlane_b32 s82, v3, 18                                 // 000000016128: D2890052 00012503
	s_and_b32 s82, s82, 0xffffff                               // 000000016130: 8652FF52 00FFFFFF
	s_cmp_lt_u32 s82, s66                                      // 000000016138: BF0A4252
	s_cselect_b32 s20, s36, s60                                // 00000001613C: 85143C24
	v_readlane_b32 s82, v3, 19                                 // 000000016140: D2890052 00012703
	s_and_b32 s82, s82, 0xffffff                               // 000000016148: 8652FF52 00FFFFFF
	s_cmp_lt_u32 s82, s66                                      // 000000016150: BF0A4252
	s_cselect_b32 s21, s36, s60                                // 000000016154: 85153C24
	s_mov_b64 exec, s[20:21]                                   // 000000016158: BEFE0114
	global_atomic_add_f32 v6, v211, s[8:9] offset:8            // 00000001615C: DD348008 0008D306
	global_atomic_add_f32 v6, v215, s[8:9] offset:264          // 000000016164: DD348108 0008D706
	global_atomic_add_f32 v6, v219, s[8:9] offset:520          // 00000001616C: DD348208 0008DB06
	global_atomic_add_f32 v6, v223, s[8:9] offset:776          // 000000016174: DD348308 0008DF06
	s_mov_b64 exec, s[36:37]                                   // 00000001617C: BEFE0124
	s_branch label_4DE4                                        // 000000016180: BF820000

0000000000016184 <label_4DE4>:
	s_waitcnt vmcnt(0) expcnt(0) lgkmcnt(0)                    // 000000016184: BF8C0000
	s_endpgm                                                   // 000000016188: BF810000
